;; amdgpu-corpus repo=LLNL/RAJAPerf kind=compiled arch=gfx90a opt=O3
	.text
	.amdgcn_target "amdgcn-amd-amdhsa--gfx90a"
	.amdhsa_code_object_version 6
	.section	.text._ZN8rajaperf9polybench14poly_heat_3D_1ILm32ELm8ELm1EEEvPdS2_l,"axG",@progbits,_ZN8rajaperf9polybench14poly_heat_3D_1ILm32ELm8ELm1EEEvPdS2_l,comdat
	.protected	_ZN8rajaperf9polybench14poly_heat_3D_1ILm32ELm8ELm1EEEvPdS2_l ; -- Begin function _ZN8rajaperf9polybench14poly_heat_3D_1ILm32ELm8ELm1EEEvPdS2_l
	.globl	_ZN8rajaperf9polybench14poly_heat_3D_1ILm32ELm8ELm1EEEvPdS2_l
	.p2align	8
	.type	_ZN8rajaperf9polybench14poly_heat_3D_1ILm32ELm8ELm1EEEvPdS2_l,@function
_ZN8rajaperf9polybench14poly_heat_3D_1ILm32ELm8ELm1EEEvPdS2_l: ; @_ZN8rajaperf9polybench14poly_heat_3D_1ILm32ELm8ELm1EEEvPdS2_l
; %bb.0:
	s_load_dwordx2 s[10:11], s[4:5], 0x10
	s_mov_b32 s9, 0
	s_mov_b32 s0, s7
	;; [unrolled: 1-line block ×3, first 2 shown]
	v_bfe_u32 v1, v0, 10, 10
	s_lshl_b64 s[0:1], s[0:1], 3
	v_add_u32_e32 v1, 1, v1
	v_mov_b32_e32 v3, s1
	v_add_co_u32_e32 v2, vcc, s0, v1
	s_mov_b32 s7, s9
	v_and_b32_e32 v0, 0x3ff, v0
	s_add_i32 s8, s8, 1
	v_addc_co_u32_e32 v3, vcc, 0, v3, vcc
	s_lshl_b64 s[6:7], s[6:7], 5
	v_add_u32_e32 v1, 1, v0
	v_mov_b32_e32 v5, s7
	v_add_co_u32_e32 v4, vcc, s6, v1
	s_waitcnt lgkmcnt(0)
	s_add_u32 s2, s10, -1
	v_addc_co_u32_e32 v5, vcc, 0, v5, vcc
	s_addc_u32 s3, s11, -1
	v_pk_mov_b32 v[6:7], s[8:9], s[8:9] op_sel:[0,1]
	v_cmp_gt_i64_e32 vcc, s[2:3], v[6:7]
	v_cmp_gt_i64_e64 s[0:1], s[2:3], v[2:3]
	v_cmp_gt_i64_e64 s[2:3], s[2:3], v[4:5]
	s_and_b64 s[0:1], s[0:1], s[2:3]
	s_and_b64 s[0:1], s[0:1], vcc
	s_and_saveexec_b64 s[2:3], s[0:1]
	s_cbranch_execz .LBB0_2
; %bb.1:
	s_load_dwordx4 s[0:3], s[4:5], 0x0
	s_add_u32 s4, s8, 1
	s_addc_u32 s5, 0, 0
	s_mul_i32 s5, s5, s10
	s_mul_i32 s9, s4, s11
	v_mov_b32_e32 v8, s10
	s_add_i32 s9, s9, s5
	v_mad_u64_u32 v[4:5], s[4:5], s4, v8, v[2:3]
	v_add_u32_e32 v1, s9, v5
	v_mul_lo_u32 v1, v1, s10
	v_mul_lo_u32 v6, v4, s11
	v_mad_u64_u32 v[4:5], s[4:5], v4, s10, 0
	v_add3_u32 v5, v5, v6, v1
	v_mov_b32_e32 v1, s7
	v_add_co_u32_e32 v0, vcc, s6, v0
	v_addc_co_u32_e32 v1, vcc, 0, v1, vcc
	v_lshlrev_b64 v[6:7], 3, v[0:1]
	s_waitcnt lgkmcnt(0)
	v_mov_b32_e32 v9, s1
	v_add_co_u32_e32 v18, vcc, s0, v6
	v_addc_co_u32_e32 v19, vcc, v9, v7, vcc
	s_mul_i32 s4, s8, s11
	v_mad_u64_u32 v[8:9], s[0:1], s8, v8, v[2:3]
	v_add_u32_e32 v9, s4, v9
	v_mad_u64_u32 v[6:7], s[0:1], v8, s10, 0
	v_mul_lo_u32 v28, s11, v8
	v_mul_lo_u32 v29, s10, v9
	v_add3_u32 v7, v7, v28, v29
	v_lshlrev_b64 v[6:7], 3, v[6:7]
	v_add_co_u32_e32 v10, vcc, v18, v6
	s_mul_hi_u32 s0, s8, s10
	v_addc_co_u32_e32 v11, vcc, v19, v7, vcc
	v_lshlrev_b64 v[4:5], 3, v[4:5]
	s_add_i32 s0, s0, s4
	s_mul_i32 s1, s8, s10
	v_add_co_u32_e32 v12, vcc, v18, v4
	s_sub_u32 s1, s1, s10
	v_addc_co_u32_e32 v13, vcc, v19, v5, vcc
	s_subb_u32 s0, s0, s11
	v_mov_b32_e32 v14, s0
	v_add_co_u32_e32 v2, vcc, s1, v2
	v_addc_co_u32_e32 v3, vcc, v14, v3, vcc
	v_mul_lo_u32 v14, v3, s10
	v_mul_lo_u32 v15, v2, s11
	v_mad_u64_u32 v[2:3], s[0:1], v2, s10, 0
	v_add3_u32 v3, v3, v15, v14
	v_pk_mov_b32 v[14:15], s[10:11], s[10:11] op_sel:[0,1]
	v_lshlrev_b64 v[2:3], 3, v[2:3]
	v_mad_u64_u32 v[14:15], s[0:1], s10, v8, v[14:15]
	v_add_co_u32_e32 v2, vcc, v18, v2
	v_add3_u32 v15, v28, v15, v29
	v_addc_co_u32_e32 v3, vcc, v19, v3, vcc
	v_lshlrev_b64 v[14:15], 3, v[14:15]
	v_add_co_u32_e32 v14, vcc, v18, v14
	v_addc_co_u32_e32 v15, vcc, v19, v15, vcc
	v_add_co_u32_e32 v16, vcc, -1, v8
	v_addc_co_u32_e32 v9, vcc, -1, v9, vcc
	v_mul_lo_u32 v9, v9, s10
	v_mul_lo_u32 v20, v16, s11
	v_mad_u64_u32 v[16:17], s[0:1], v16, s10, 0
	v_add3_u32 v17, v17, v20, v9
	global_load_dwordx4 v[4:7], v[10:11], off
	v_lshlrev_b64 v[16:17], 3, v[16:17]
	v_add_co_u32_e32 v16, vcc, v18, v16
	v_addc_co_u32_e32 v17, vcc, v19, v17, vcc
	global_load_dwordx2 v[18:19], v[12:13], off offset:8
	global_load_dwordx2 v[20:21], v[2:3], off offset:8
	;; [unrolled: 1-line block ×5, first 2 shown]
	v_mad_u64_u32 v[0:1], s[0:1], v8, s10, v[0:1]
	v_add3_u32 v1, v29, v1, v28
	v_lshlrev_b64 v[0:1], 3, v[0:1]
	v_add_co_u32_e32 v0, vcc, s2, v0
	s_waitcnt vmcnt(4)
	v_fmac_f64_e32 v[18:19], -2.0, v[6:7]
	s_waitcnt vmcnt(3)
	v_add_f64 v[2:3], v[20:21], v[18:19]
	s_waitcnt vmcnt(2)
	v_fmac_f64_e32 v[22:23], -2.0, v[6:7]
	s_waitcnt vmcnt(1)
	v_add_f64 v[8:9], v[22:23], v[24:25]
	v_ldexp_f64 v[8:9], v[8:9], -3
	s_waitcnt vmcnt(0)
	v_fmac_f64_e32 v[26:27], -2.0, v[6:7]
	v_fmac_f64_e32 v[8:9], 0x3fc00000, v[2:3]
	v_add_f64 v[2:3], v[26:27], v[4:5]
	v_fmac_f64_e32 v[8:9], 0x3fc00000, v[2:3]
	v_mov_b32_e32 v4, s3
	v_add_f64 v[2:3], v[6:7], v[8:9]
	v_addc_co_u32_e32 v1, vcc, v4, v1, vcc
	global_store_dwordx2 v[0:1], v[2:3], off offset:8
.LBB0_2:
	s_endpgm
	.section	.rodata,"a",@progbits
	.p2align	6, 0x0
	.amdhsa_kernel _ZN8rajaperf9polybench14poly_heat_3D_1ILm32ELm8ELm1EEEvPdS2_l
		.amdhsa_group_segment_fixed_size 0
		.amdhsa_private_segment_fixed_size 0
		.amdhsa_kernarg_size 24
		.amdhsa_user_sgpr_count 6
		.amdhsa_user_sgpr_private_segment_buffer 1
		.amdhsa_user_sgpr_dispatch_ptr 0
		.amdhsa_user_sgpr_queue_ptr 0
		.amdhsa_user_sgpr_kernarg_segment_ptr 1
		.amdhsa_user_sgpr_dispatch_id 0
		.amdhsa_user_sgpr_flat_scratch_init 0
		.amdhsa_user_sgpr_kernarg_preload_length 0
		.amdhsa_user_sgpr_kernarg_preload_offset 0
		.amdhsa_user_sgpr_private_segment_size 0
		.amdhsa_uses_dynamic_stack 0
		.amdhsa_system_sgpr_private_segment_wavefront_offset 0
		.amdhsa_system_sgpr_workgroup_id_x 1
		.amdhsa_system_sgpr_workgroup_id_y 1
		.amdhsa_system_sgpr_workgroup_id_z 1
		.amdhsa_system_sgpr_workgroup_info 0
		.amdhsa_system_vgpr_workitem_id 1
		.amdhsa_next_free_vgpr 30
		.amdhsa_next_free_sgpr 12
		.amdhsa_accum_offset 32
		.amdhsa_reserve_vcc 1
		.amdhsa_reserve_flat_scratch 0
		.amdhsa_float_round_mode_32 0
		.amdhsa_float_round_mode_16_64 0
		.amdhsa_float_denorm_mode_32 3
		.amdhsa_float_denorm_mode_16_64 3
		.amdhsa_dx10_clamp 1
		.amdhsa_ieee_mode 1
		.amdhsa_fp16_overflow 0
		.amdhsa_tg_split 0
		.amdhsa_exception_fp_ieee_invalid_op 0
		.amdhsa_exception_fp_denorm_src 0
		.amdhsa_exception_fp_ieee_div_zero 0
		.amdhsa_exception_fp_ieee_overflow 0
		.amdhsa_exception_fp_ieee_underflow 0
		.amdhsa_exception_fp_ieee_inexact 0
		.amdhsa_exception_int_div_zero 0
	.end_amdhsa_kernel
	.section	.text._ZN8rajaperf9polybench14poly_heat_3D_1ILm32ELm8ELm1EEEvPdS2_l,"axG",@progbits,_ZN8rajaperf9polybench14poly_heat_3D_1ILm32ELm8ELm1EEEvPdS2_l,comdat
.Lfunc_end0:
	.size	_ZN8rajaperf9polybench14poly_heat_3D_1ILm32ELm8ELm1EEEvPdS2_l, .Lfunc_end0-_ZN8rajaperf9polybench14poly_heat_3D_1ILm32ELm8ELm1EEEvPdS2_l
                                        ; -- End function
	.section	.AMDGPU.csdata,"",@progbits
; Kernel info:
; codeLenInByte = 692
; NumSgprs: 16
; NumVgprs: 30
; NumAgprs: 0
; TotalNumVgprs: 30
; ScratchSize: 0
; MemoryBound: 0
; FloatMode: 240
; IeeeMode: 1
; LDSByteSize: 0 bytes/workgroup (compile time only)
; SGPRBlocks: 1
; VGPRBlocks: 3
; NumSGPRsForWavesPerEU: 16
; NumVGPRsForWavesPerEU: 30
; AccumOffset: 32
; Occupancy: 8
; WaveLimiterHint : 0
; COMPUTE_PGM_RSRC2:SCRATCH_EN: 0
; COMPUTE_PGM_RSRC2:USER_SGPR: 6
; COMPUTE_PGM_RSRC2:TRAP_HANDLER: 0
; COMPUTE_PGM_RSRC2:TGID_X_EN: 1
; COMPUTE_PGM_RSRC2:TGID_Y_EN: 1
; COMPUTE_PGM_RSRC2:TGID_Z_EN: 1
; COMPUTE_PGM_RSRC2:TIDIG_COMP_CNT: 1
; COMPUTE_PGM_RSRC3_GFX90A:ACCUM_OFFSET: 7
; COMPUTE_PGM_RSRC3_GFX90A:TG_SPLIT: 0
	.section	.text._ZN8rajaperf9polybench14poly_heat_3D_2ILm32ELm8ELm1EEEvPdS2_l,"axG",@progbits,_ZN8rajaperf9polybench14poly_heat_3D_2ILm32ELm8ELm1EEEvPdS2_l,comdat
	.protected	_ZN8rajaperf9polybench14poly_heat_3D_2ILm32ELm8ELm1EEEvPdS2_l ; -- Begin function _ZN8rajaperf9polybench14poly_heat_3D_2ILm32ELm8ELm1EEEvPdS2_l
	.globl	_ZN8rajaperf9polybench14poly_heat_3D_2ILm32ELm8ELm1EEEvPdS2_l
	.p2align	8
	.type	_ZN8rajaperf9polybench14poly_heat_3D_2ILm32ELm8ELm1EEEvPdS2_l,@function
_ZN8rajaperf9polybench14poly_heat_3D_2ILm32ELm8ELm1EEEvPdS2_l: ; @_ZN8rajaperf9polybench14poly_heat_3D_2ILm32ELm8ELm1EEEvPdS2_l
; %bb.0:
	s_load_dwordx2 s[10:11], s[4:5], 0x10
	s_mov_b32 s9, 0
	s_mov_b32 s0, s7
	;; [unrolled: 1-line block ×3, first 2 shown]
	v_bfe_u32 v1, v0, 10, 10
	s_lshl_b64 s[0:1], s[0:1], 3
	v_add_u32_e32 v1, 1, v1
	v_mov_b32_e32 v3, s1
	v_add_co_u32_e32 v2, vcc, s0, v1
	s_mov_b32 s7, s9
	v_and_b32_e32 v0, 0x3ff, v0
	s_add_i32 s8, s8, 1
	v_addc_co_u32_e32 v3, vcc, 0, v3, vcc
	s_lshl_b64 s[6:7], s[6:7], 5
	v_add_u32_e32 v1, 1, v0
	v_mov_b32_e32 v5, s7
	v_add_co_u32_e32 v4, vcc, s6, v1
	s_waitcnt lgkmcnt(0)
	s_add_u32 s2, s10, -1
	v_addc_co_u32_e32 v5, vcc, 0, v5, vcc
	s_addc_u32 s3, s11, -1
	v_pk_mov_b32 v[6:7], s[8:9], s[8:9] op_sel:[0,1]
	v_cmp_gt_i64_e32 vcc, s[2:3], v[6:7]
	v_cmp_gt_i64_e64 s[0:1], s[2:3], v[2:3]
	v_cmp_gt_i64_e64 s[2:3], s[2:3], v[4:5]
	s_and_b64 s[0:1], s[0:1], s[2:3]
	s_and_b64 s[0:1], s[0:1], vcc
	s_and_saveexec_b64 s[2:3], s[0:1]
	s_cbranch_execz .LBB1_2
; %bb.1:
	s_load_dwordx4 s[0:3], s[4:5], 0x0
	s_add_u32 s4, s8, 1
	s_addc_u32 s5, 0, 0
	s_mul_i32 s5, s5, s10
	s_mul_i32 s9, s4, s11
	v_mov_b32_e32 v8, s10
	s_add_i32 s9, s9, s5
	v_mad_u64_u32 v[4:5], s[4:5], s4, v8, v[2:3]
	v_add_u32_e32 v1, s9, v5
	v_mul_lo_u32 v1, v1, s10
	v_mul_lo_u32 v6, v4, s11
	v_mad_u64_u32 v[4:5], s[4:5], v4, s10, 0
	v_add3_u32 v5, v5, v6, v1
	v_mov_b32_e32 v1, s7
	v_add_co_u32_e32 v0, vcc, s6, v0
	v_addc_co_u32_e32 v1, vcc, 0, v1, vcc
	v_lshlrev_b64 v[6:7], 3, v[0:1]
	s_waitcnt lgkmcnt(0)
	v_mov_b32_e32 v9, s3
	v_add_co_u32_e32 v18, vcc, s2, v6
	v_addc_co_u32_e32 v19, vcc, v9, v7, vcc
	s_mul_i32 s4, s8, s11
	v_mad_u64_u32 v[8:9], s[2:3], s8, v8, v[2:3]
	v_add_u32_e32 v9, s4, v9
	v_mad_u64_u32 v[6:7], s[2:3], v8, s10, 0
	v_mul_lo_u32 v28, s11, v8
	v_mul_lo_u32 v29, s10, v9
	v_add3_u32 v7, v7, v28, v29
	v_lshlrev_b64 v[6:7], 3, v[6:7]
	v_add_co_u32_e32 v10, vcc, v18, v6
	s_mul_hi_u32 s2, s8, s10
	v_addc_co_u32_e32 v11, vcc, v19, v7, vcc
	v_lshlrev_b64 v[4:5], 3, v[4:5]
	s_add_i32 s2, s2, s4
	s_mul_i32 s3, s8, s10
	v_add_co_u32_e32 v12, vcc, v18, v4
	s_sub_u32 s3, s3, s10
	v_addc_co_u32_e32 v13, vcc, v19, v5, vcc
	s_subb_u32 s2, s2, s11
	v_mov_b32_e32 v14, s2
	v_add_co_u32_e32 v2, vcc, s3, v2
	v_addc_co_u32_e32 v3, vcc, v14, v3, vcc
	v_mul_lo_u32 v14, v3, s10
	v_mul_lo_u32 v15, v2, s11
	v_mad_u64_u32 v[2:3], s[2:3], v2, s10, 0
	v_add3_u32 v3, v3, v15, v14
	v_pk_mov_b32 v[14:15], s[10:11], s[10:11] op_sel:[0,1]
	v_lshlrev_b64 v[2:3], 3, v[2:3]
	v_mad_u64_u32 v[14:15], s[2:3], s10, v8, v[14:15]
	v_add_co_u32_e32 v2, vcc, v18, v2
	v_add3_u32 v15, v28, v15, v29
	v_addc_co_u32_e32 v3, vcc, v19, v3, vcc
	v_lshlrev_b64 v[14:15], 3, v[14:15]
	v_add_co_u32_e32 v14, vcc, v18, v14
	v_addc_co_u32_e32 v15, vcc, v19, v15, vcc
	v_add_co_u32_e32 v16, vcc, -1, v8
	v_addc_co_u32_e32 v9, vcc, -1, v9, vcc
	v_mul_lo_u32 v9, v9, s10
	v_mul_lo_u32 v20, v16, s11
	v_mad_u64_u32 v[16:17], s[2:3], v16, s10, 0
	v_add3_u32 v17, v17, v20, v9
	global_load_dwordx4 v[4:7], v[10:11], off
	v_lshlrev_b64 v[16:17], 3, v[16:17]
	v_add_co_u32_e32 v16, vcc, v18, v16
	v_addc_co_u32_e32 v17, vcc, v19, v17, vcc
	global_load_dwordx2 v[18:19], v[12:13], off offset:8
	global_load_dwordx2 v[20:21], v[2:3], off offset:8
	;; [unrolled: 1-line block ×5, first 2 shown]
	v_mad_u64_u32 v[0:1], s[2:3], v8, s10, v[0:1]
	v_add3_u32 v1, v29, v1, v28
	v_lshlrev_b64 v[0:1], 3, v[0:1]
	v_add_co_u32_e32 v0, vcc, s0, v0
	s_waitcnt vmcnt(4)
	v_fmac_f64_e32 v[18:19], -2.0, v[6:7]
	s_waitcnt vmcnt(3)
	v_add_f64 v[2:3], v[20:21], v[18:19]
	s_waitcnt vmcnt(2)
	v_fmac_f64_e32 v[22:23], -2.0, v[6:7]
	s_waitcnt vmcnt(1)
	v_add_f64 v[8:9], v[22:23], v[24:25]
	v_ldexp_f64 v[8:9], v[8:9], -3
	s_waitcnt vmcnt(0)
	v_fmac_f64_e32 v[26:27], -2.0, v[6:7]
	v_fmac_f64_e32 v[8:9], 0x3fc00000, v[2:3]
	v_add_f64 v[2:3], v[26:27], v[4:5]
	v_fmac_f64_e32 v[8:9], 0x3fc00000, v[2:3]
	v_mov_b32_e32 v4, s1
	v_add_f64 v[2:3], v[6:7], v[8:9]
	v_addc_co_u32_e32 v1, vcc, v4, v1, vcc
	global_store_dwordx2 v[0:1], v[2:3], off offset:8
.LBB1_2:
	s_endpgm
	.section	.rodata,"a",@progbits
	.p2align	6, 0x0
	.amdhsa_kernel _ZN8rajaperf9polybench14poly_heat_3D_2ILm32ELm8ELm1EEEvPdS2_l
		.amdhsa_group_segment_fixed_size 0
		.amdhsa_private_segment_fixed_size 0
		.amdhsa_kernarg_size 24
		.amdhsa_user_sgpr_count 6
		.amdhsa_user_sgpr_private_segment_buffer 1
		.amdhsa_user_sgpr_dispatch_ptr 0
		.amdhsa_user_sgpr_queue_ptr 0
		.amdhsa_user_sgpr_kernarg_segment_ptr 1
		.amdhsa_user_sgpr_dispatch_id 0
		.amdhsa_user_sgpr_flat_scratch_init 0
		.amdhsa_user_sgpr_kernarg_preload_length 0
		.amdhsa_user_sgpr_kernarg_preload_offset 0
		.amdhsa_user_sgpr_private_segment_size 0
		.amdhsa_uses_dynamic_stack 0
		.amdhsa_system_sgpr_private_segment_wavefront_offset 0
		.amdhsa_system_sgpr_workgroup_id_x 1
		.amdhsa_system_sgpr_workgroup_id_y 1
		.amdhsa_system_sgpr_workgroup_id_z 1
		.amdhsa_system_sgpr_workgroup_info 0
		.amdhsa_system_vgpr_workitem_id 1
		.amdhsa_next_free_vgpr 30
		.amdhsa_next_free_sgpr 12
		.amdhsa_accum_offset 32
		.amdhsa_reserve_vcc 1
		.amdhsa_reserve_flat_scratch 0
		.amdhsa_float_round_mode_32 0
		.amdhsa_float_round_mode_16_64 0
		.amdhsa_float_denorm_mode_32 3
		.amdhsa_float_denorm_mode_16_64 3
		.amdhsa_dx10_clamp 1
		.amdhsa_ieee_mode 1
		.amdhsa_fp16_overflow 0
		.amdhsa_tg_split 0
		.amdhsa_exception_fp_ieee_invalid_op 0
		.amdhsa_exception_fp_denorm_src 0
		.amdhsa_exception_fp_ieee_div_zero 0
		.amdhsa_exception_fp_ieee_overflow 0
		.amdhsa_exception_fp_ieee_underflow 0
		.amdhsa_exception_fp_ieee_inexact 0
		.amdhsa_exception_int_div_zero 0
	.end_amdhsa_kernel
	.section	.text._ZN8rajaperf9polybench14poly_heat_3D_2ILm32ELm8ELm1EEEvPdS2_l,"axG",@progbits,_ZN8rajaperf9polybench14poly_heat_3D_2ILm32ELm8ELm1EEEvPdS2_l,comdat
.Lfunc_end1:
	.size	_ZN8rajaperf9polybench14poly_heat_3D_2ILm32ELm8ELm1EEEvPdS2_l, .Lfunc_end1-_ZN8rajaperf9polybench14poly_heat_3D_2ILm32ELm8ELm1EEEvPdS2_l
                                        ; -- End function
	.section	.AMDGPU.csdata,"",@progbits
; Kernel info:
; codeLenInByte = 692
; NumSgprs: 16
; NumVgprs: 30
; NumAgprs: 0
; TotalNumVgprs: 30
; ScratchSize: 0
; MemoryBound: 0
; FloatMode: 240
; IeeeMode: 1
; LDSByteSize: 0 bytes/workgroup (compile time only)
; SGPRBlocks: 1
; VGPRBlocks: 3
; NumSGPRsForWavesPerEU: 16
; NumVGPRsForWavesPerEU: 30
; AccumOffset: 32
; Occupancy: 8
; WaveLimiterHint : 0
; COMPUTE_PGM_RSRC2:SCRATCH_EN: 0
; COMPUTE_PGM_RSRC2:USER_SGPR: 6
; COMPUTE_PGM_RSRC2:TRAP_HANDLER: 0
; COMPUTE_PGM_RSRC2:TGID_X_EN: 1
; COMPUTE_PGM_RSRC2:TGID_Y_EN: 1
; COMPUTE_PGM_RSRC2:TGID_Z_EN: 1
; COMPUTE_PGM_RSRC2:TIDIG_COMP_CNT: 1
; COMPUTE_PGM_RSRC3_GFX90A:ACCUM_OFFSET: 7
; COMPUTE_PGM_RSRC3_GFX90A:TG_SPLIT: 0
	.section	.text._ZN8rajaperf9polybench16poly_heat_3D_lamILm32ELm8ELm1EZNS0_17POLYBENCH_HEAT_3D17runHipVariantImplILm256EEEvNS_9VariantIDEEUllllE_EEvlT2_,"axG",@progbits,_ZN8rajaperf9polybench16poly_heat_3D_lamILm32ELm8ELm1EZNS0_17POLYBENCH_HEAT_3D17runHipVariantImplILm256EEEvNS_9VariantIDEEUllllE_EEvlT2_,comdat
	.protected	_ZN8rajaperf9polybench16poly_heat_3D_lamILm32ELm8ELm1EZNS0_17POLYBENCH_HEAT_3D17runHipVariantImplILm256EEEvNS_9VariantIDEEUllllE_EEvlT2_ ; -- Begin function _ZN8rajaperf9polybench16poly_heat_3D_lamILm32ELm8ELm1EZNS0_17POLYBENCH_HEAT_3D17runHipVariantImplILm256EEEvNS_9VariantIDEEUllllE_EEvlT2_
	.globl	_ZN8rajaperf9polybench16poly_heat_3D_lamILm32ELm8ELm1EZNS0_17POLYBENCH_HEAT_3D17runHipVariantImplILm256EEEvNS_9VariantIDEEUllllE_EEvlT2_
	.p2align	8
	.type	_ZN8rajaperf9polybench16poly_heat_3D_lamILm32ELm8ELm1EZNS0_17POLYBENCH_HEAT_3D17runHipVariantImplILm256EEEvNS_9VariantIDEEUllllE_EEvlT2_,@function
_ZN8rajaperf9polybench16poly_heat_3D_lamILm32ELm8ELm1EZNS0_17POLYBENCH_HEAT_3D17runHipVariantImplILm256EEEvNS_9VariantIDEEUllllE_EEvlT2_: ; @_ZN8rajaperf9polybench16poly_heat_3D_lamILm32ELm8ELm1EZNS0_17POLYBENCH_HEAT_3D17runHipVariantImplILm256EEEvNS_9VariantIDEEUllllE_EEvlT2_
; %bb.0:
	s_load_dwordx2 s[2:3], s[4:5], 0x0
	s_mov_b32 s9, 0
	s_mov_b32 s0, s7
	;; [unrolled: 1-line block ×3, first 2 shown]
	v_bfe_u32 v1, v0, 10, 10
	s_lshl_b64 s[0:1], s[0:1], 3
	v_add_u32_e32 v1, 1, v1
	v_mov_b32_e32 v3, s1
	v_add_co_u32_e32 v2, vcc, s0, v1
	s_mov_b32 s7, s9
	v_and_b32_e32 v0, 0x3ff, v0
	s_add_i32 s8, s8, 1
	v_addc_co_u32_e32 v3, vcc, 0, v3, vcc
	s_lshl_b64 s[6:7], s[6:7], 5
	v_add_u32_e32 v1, 1, v0
	v_mov_b32_e32 v5, s7
	v_add_co_u32_e32 v4, vcc, s6, v1
	s_waitcnt lgkmcnt(0)
	s_add_u32 s2, s2, -1
	v_addc_co_u32_e32 v5, vcc, 0, v5, vcc
	s_addc_u32 s3, s3, -1
	v_pk_mov_b32 v[6:7], s[8:9], s[8:9] op_sel:[0,1]
	v_cmp_gt_i64_e32 vcc, s[2:3], v[6:7]
	v_cmp_gt_i64_e64 s[0:1], s[2:3], v[2:3]
	v_cmp_gt_i64_e64 s[2:3], s[2:3], v[4:5]
	s_and_b64 s[0:1], s[0:1], s[2:3]
	s_and_b64 s[0:1], s[0:1], vcc
	s_and_saveexec_b64 s[2:3], s[0:1]
	s_cbranch_execz .LBB2_2
; %bb.1:
	s_load_dwordx4 s[0:3], s[4:5], 0x8
	s_load_dwordx2 s[10:11], s[4:5], 0x18
	s_add_u32 s4, s8, 1
	s_addc_u32 s5, 0, 0
	v_mov_b32_e32 v1, s4
	s_waitcnt lgkmcnt(0)
	s_mul_i32 s9, s3, s4
	s_mul_i32 s5, s2, s5
	s_add_i32 s9, s5, s9
	v_mad_u64_u32 v[4:5], s[4:5], s2, v1, v[2:3]
	v_add_u32_e32 v1, s9, v5
	v_mul_lo_u32 v1, v1, s2
	v_mul_lo_u32 v6, v4, s3
	v_mad_u64_u32 v[4:5], s[4:5], v4, s2, 0
	v_add3_u32 v5, v5, v6, v1
	v_mov_b32_e32 v1, s7
	v_add_co_u32_e32 v0, vcc, s6, v0
	v_addc_co_u32_e32 v1, vcc, 0, v1, vcc
	v_lshlrev_b64 v[6:7], 3, v[0:1]
	v_mov_b32_e32 v8, s11
	v_add_co_u32_e32 v18, vcc, s10, v6
	v_lshlrev_b64 v[4:5], 3, v[4:5]
	v_addc_co_u32_e32 v19, vcc, v8, v7, vcc
	v_add_co_u32_e32 v8, vcc, v18, v4
	s_mul_i32 s6, s3, s8
	s_mul_hi_u32 s4, s2, s8
	v_mov_b32_e32 v4, s8
	s_add_i32 s7, s4, s6
	v_mad_u64_u32 v[10:11], s[4:5], s2, v4, v[2:3]
	v_add_u32_e32 v6, s6, v11
	v_addc_co_u32_e32 v9, vcc, v19, v5, vcc
	v_mad_u64_u32 v[4:5], s[4:5], v10, s2, 0
	v_mul_lo_u32 v11, v10, s3
	v_mul_lo_u32 v26, v6, s2
	v_add3_u32 v5, v5, v11, v26
	s_mul_i32 s9, s2, s8
	v_lshlrev_b64 v[4:5], 3, v[4:5]
	v_add_co_u32_e32 v12, vcc, v18, v4
	s_sub_u32 s4, s9, s2
	v_addc_co_u32_e32 v13, vcc, v19, v5, vcc
	s_subb_u32 s5, s7, s3
	global_load_dwordx2 v[14:15], v[8:9], off offset:8
	global_load_dwordx4 v[4:7], v[12:13], off
	v_mov_b32_e32 v8, s5
	v_add_co_u32_e32 v2, vcc, s4, v2
	v_addc_co_u32_e32 v3, vcc, v8, v3, vcc
	v_mul_lo_u32 v8, v3, s2
	v_mul_lo_u32 v9, v2, s3
	v_mad_u64_u32 v[2:3], s[4:5], v2, s2, 0
	v_add3_u32 v3, v3, v9, v8
	v_pk_mov_b32 v[8:9], s[2:3], s[2:3] op_sel:[0,1]
	v_lshlrev_b64 v[2:3], 3, v[2:3]
	v_mad_u64_u32 v[8:9], s[4:5], v10, s2, v[8:9]
	v_add_co_u32_e32 v2, vcc, v18, v2
	v_add3_u32 v9, v26, v9, v11
	v_addc_co_u32_e32 v3, vcc, v19, v3, vcc
	v_lshlrev_b64 v[16:17], 3, v[8:9]
	v_add_co_u32_e32 v16, vcc, v18, v16
	v_addc_co_u32_e32 v17, vcc, v19, v17, vcc
	s_lshl_b64 s[4:5], s[2:3], 1
	v_mov_b32_e32 v20, s5
	v_subrev_co_u32_e32 v8, vcc, s4, v8
	v_subb_co_u32_e32 v9, vcc, v9, v20, vcc
	v_lshlrev_b64 v[8:9], 3, v[8:9]
	v_add_co_u32_e32 v8, vcc, v18, v8
	v_addc_co_u32_e32 v9, vcc, v19, v9, vcc
	global_load_dwordx2 v[18:19], v[2:3], off offset:8
	global_load_dwordx2 v[20:21], v[16:17], off offset:8
	;; [unrolled: 1-line block ×4, first 2 shown]
	v_mad_u64_u32 v[0:1], s[2:3], v10, s2, v[0:1]
	v_add3_u32 v1, v26, v1, v11
	v_lshlrev_b64 v[0:1], 3, v[0:1]
	v_add_co_u32_e32 v0, vcc, s0, v0
	s_waitcnt vmcnt(4)
	v_fmac_f64_e32 v[14:15], -2.0, v[6:7]
	s_waitcnt vmcnt(3)
	v_add_f64 v[2:3], v[18:19], v[14:15]
	s_waitcnt vmcnt(2)
	v_fmac_f64_e32 v[20:21], -2.0, v[6:7]
	s_waitcnt vmcnt(1)
	v_add_f64 v[8:9], v[20:21], v[22:23]
	v_ldexp_f64 v[8:9], v[8:9], -3
	s_waitcnt vmcnt(0)
	v_fmac_f64_e32 v[24:25], -2.0, v[6:7]
	v_fmac_f64_e32 v[8:9], 0x3fc00000, v[2:3]
	v_add_f64 v[2:3], v[24:25], v[4:5]
	v_fmac_f64_e32 v[8:9], 0x3fc00000, v[2:3]
	v_mov_b32_e32 v4, s1
	v_add_f64 v[2:3], v[6:7], v[8:9]
	v_addc_co_u32_e32 v1, vcc, v4, v1, vcc
	global_store_dwordx2 v[0:1], v[2:3], off offset:8
.LBB2_2:
	s_endpgm
	.section	.rodata,"a",@progbits
	.p2align	6, 0x0
	.amdhsa_kernel _ZN8rajaperf9polybench16poly_heat_3D_lamILm32ELm8ELm1EZNS0_17POLYBENCH_HEAT_3D17runHipVariantImplILm256EEEvNS_9VariantIDEEUllllE_EEvlT2_
		.amdhsa_group_segment_fixed_size 0
		.amdhsa_private_segment_fixed_size 0
		.amdhsa_kernarg_size 32
		.amdhsa_user_sgpr_count 6
		.amdhsa_user_sgpr_private_segment_buffer 1
		.amdhsa_user_sgpr_dispatch_ptr 0
		.amdhsa_user_sgpr_queue_ptr 0
		.amdhsa_user_sgpr_kernarg_segment_ptr 1
		.amdhsa_user_sgpr_dispatch_id 0
		.amdhsa_user_sgpr_flat_scratch_init 0
		.amdhsa_user_sgpr_kernarg_preload_length 0
		.amdhsa_user_sgpr_kernarg_preload_offset 0
		.amdhsa_user_sgpr_private_segment_size 0
		.amdhsa_uses_dynamic_stack 0
		.amdhsa_system_sgpr_private_segment_wavefront_offset 0
		.amdhsa_system_sgpr_workgroup_id_x 1
		.amdhsa_system_sgpr_workgroup_id_y 1
		.amdhsa_system_sgpr_workgroup_id_z 1
		.amdhsa_system_sgpr_workgroup_info 0
		.amdhsa_system_vgpr_workitem_id 1
		.amdhsa_next_free_vgpr 27
		.amdhsa_next_free_sgpr 12
		.amdhsa_accum_offset 28
		.amdhsa_reserve_vcc 1
		.amdhsa_reserve_flat_scratch 0
		.amdhsa_float_round_mode_32 0
		.amdhsa_float_round_mode_16_64 0
		.amdhsa_float_denorm_mode_32 3
		.amdhsa_float_denorm_mode_16_64 3
		.amdhsa_dx10_clamp 1
		.amdhsa_ieee_mode 1
		.amdhsa_fp16_overflow 0
		.amdhsa_tg_split 0
		.amdhsa_exception_fp_ieee_invalid_op 0
		.amdhsa_exception_fp_denorm_src 0
		.amdhsa_exception_fp_ieee_div_zero 0
		.amdhsa_exception_fp_ieee_overflow 0
		.amdhsa_exception_fp_ieee_underflow 0
		.amdhsa_exception_fp_ieee_inexact 0
		.amdhsa_exception_int_div_zero 0
	.end_amdhsa_kernel
	.section	.text._ZN8rajaperf9polybench16poly_heat_3D_lamILm32ELm8ELm1EZNS0_17POLYBENCH_HEAT_3D17runHipVariantImplILm256EEEvNS_9VariantIDEEUllllE_EEvlT2_,"axG",@progbits,_ZN8rajaperf9polybench16poly_heat_3D_lamILm32ELm8ELm1EZNS0_17POLYBENCH_HEAT_3D17runHipVariantImplILm256EEEvNS_9VariantIDEEUllllE_EEvlT2_,comdat
.Lfunc_end2:
	.size	_ZN8rajaperf9polybench16poly_heat_3D_lamILm32ELm8ELm1EZNS0_17POLYBENCH_HEAT_3D17runHipVariantImplILm256EEEvNS_9VariantIDEEUllllE_EEvlT2_, .Lfunc_end2-_ZN8rajaperf9polybench16poly_heat_3D_lamILm32ELm8ELm1EZNS0_17POLYBENCH_HEAT_3D17runHipVariantImplILm256EEEvNS_9VariantIDEEUllllE_EEvlT2_
                                        ; -- End function
	.section	.AMDGPU.csdata,"",@progbits
; Kernel info:
; codeLenInByte = 680
; NumSgprs: 16
; NumVgprs: 27
; NumAgprs: 0
; TotalNumVgprs: 27
; ScratchSize: 0
; MemoryBound: 0
; FloatMode: 240
; IeeeMode: 1
; LDSByteSize: 0 bytes/workgroup (compile time only)
; SGPRBlocks: 1
; VGPRBlocks: 3
; NumSGPRsForWavesPerEU: 16
; NumVGPRsForWavesPerEU: 27
; AccumOffset: 28
; Occupancy: 8
; WaveLimiterHint : 0
; COMPUTE_PGM_RSRC2:SCRATCH_EN: 0
; COMPUTE_PGM_RSRC2:USER_SGPR: 6
; COMPUTE_PGM_RSRC2:TRAP_HANDLER: 0
; COMPUTE_PGM_RSRC2:TGID_X_EN: 1
; COMPUTE_PGM_RSRC2:TGID_Y_EN: 1
; COMPUTE_PGM_RSRC2:TGID_Z_EN: 1
; COMPUTE_PGM_RSRC2:TIDIG_COMP_CNT: 1
; COMPUTE_PGM_RSRC3_GFX90A:ACCUM_OFFSET: 6
; COMPUTE_PGM_RSRC3_GFX90A:TG_SPLIT: 0
	.section	.text._ZN8rajaperf9polybench16poly_heat_3D_lamILm32ELm8ELm1EZNS0_17POLYBENCH_HEAT_3D17runHipVariantImplILm256EEEvNS_9VariantIDEEUllllE0_EEvlT2_,"axG",@progbits,_ZN8rajaperf9polybench16poly_heat_3D_lamILm32ELm8ELm1EZNS0_17POLYBENCH_HEAT_3D17runHipVariantImplILm256EEEvNS_9VariantIDEEUllllE0_EEvlT2_,comdat
	.protected	_ZN8rajaperf9polybench16poly_heat_3D_lamILm32ELm8ELm1EZNS0_17POLYBENCH_HEAT_3D17runHipVariantImplILm256EEEvNS_9VariantIDEEUllllE0_EEvlT2_ ; -- Begin function _ZN8rajaperf9polybench16poly_heat_3D_lamILm32ELm8ELm1EZNS0_17POLYBENCH_HEAT_3D17runHipVariantImplILm256EEEvNS_9VariantIDEEUllllE0_EEvlT2_
	.globl	_ZN8rajaperf9polybench16poly_heat_3D_lamILm32ELm8ELm1EZNS0_17POLYBENCH_HEAT_3D17runHipVariantImplILm256EEEvNS_9VariantIDEEUllllE0_EEvlT2_
	.p2align	8
	.type	_ZN8rajaperf9polybench16poly_heat_3D_lamILm32ELm8ELm1EZNS0_17POLYBENCH_HEAT_3D17runHipVariantImplILm256EEEvNS_9VariantIDEEUllllE0_EEvlT2_,@function
_ZN8rajaperf9polybench16poly_heat_3D_lamILm32ELm8ELm1EZNS0_17POLYBENCH_HEAT_3D17runHipVariantImplILm256EEEvNS_9VariantIDEEUllllE0_EEvlT2_: ; @_ZN8rajaperf9polybench16poly_heat_3D_lamILm32ELm8ELm1EZNS0_17POLYBENCH_HEAT_3D17runHipVariantImplILm256EEEvNS_9VariantIDEEUllllE0_EEvlT2_
; %bb.0:
	s_load_dwordx2 s[2:3], s[4:5], 0x0
	s_mov_b32 s9, 0
	s_mov_b32 s0, s7
	;; [unrolled: 1-line block ×3, first 2 shown]
	v_bfe_u32 v1, v0, 10, 10
	s_lshl_b64 s[0:1], s[0:1], 3
	v_add_u32_e32 v1, 1, v1
	v_mov_b32_e32 v3, s1
	v_add_co_u32_e32 v2, vcc, s0, v1
	s_mov_b32 s7, s9
	v_and_b32_e32 v0, 0x3ff, v0
	s_add_i32 s8, s8, 1
	v_addc_co_u32_e32 v3, vcc, 0, v3, vcc
	s_lshl_b64 s[6:7], s[6:7], 5
	v_add_u32_e32 v1, 1, v0
	v_mov_b32_e32 v5, s7
	v_add_co_u32_e32 v4, vcc, s6, v1
	s_waitcnt lgkmcnt(0)
	s_add_u32 s2, s2, -1
	v_addc_co_u32_e32 v5, vcc, 0, v5, vcc
	s_addc_u32 s3, s3, -1
	v_pk_mov_b32 v[6:7], s[8:9], s[8:9] op_sel:[0,1]
	v_cmp_gt_i64_e32 vcc, s[2:3], v[6:7]
	v_cmp_gt_i64_e64 s[0:1], s[2:3], v[2:3]
	v_cmp_gt_i64_e64 s[2:3], s[2:3], v[4:5]
	s_and_b64 s[0:1], s[0:1], s[2:3]
	s_and_b64 s[0:1], s[0:1], vcc
	s_and_saveexec_b64 s[2:3], s[0:1]
	s_cbranch_execz .LBB3_2
; %bb.1:
	s_load_dwordx4 s[0:3], s[4:5], 0x8
	s_load_dwordx2 s[10:11], s[4:5], 0x18
	s_add_u32 s4, s8, 1
	s_addc_u32 s5, 0, 0
	v_mov_b32_e32 v1, s4
	s_waitcnt lgkmcnt(0)
	s_mul_i32 s9, s3, s4
	s_mul_i32 s5, s2, s5
	s_add_i32 s9, s5, s9
	v_mad_u64_u32 v[4:5], s[4:5], s2, v1, v[2:3]
	v_add_u32_e32 v1, s9, v5
	v_mul_lo_u32 v1, v1, s2
	v_mul_lo_u32 v6, v4, s3
	v_mad_u64_u32 v[4:5], s[4:5], v4, s2, 0
	v_add3_u32 v5, v5, v6, v1
	v_mov_b32_e32 v1, s7
	v_add_co_u32_e32 v0, vcc, s6, v0
	v_addc_co_u32_e32 v1, vcc, 0, v1, vcc
	v_lshlrev_b64 v[6:7], 3, v[0:1]
	v_mov_b32_e32 v8, s11
	v_add_co_u32_e32 v18, vcc, s10, v6
	v_lshlrev_b64 v[4:5], 3, v[4:5]
	v_addc_co_u32_e32 v19, vcc, v8, v7, vcc
	v_add_co_u32_e32 v8, vcc, v18, v4
	s_mul_i32 s6, s3, s8
	s_mul_hi_u32 s4, s2, s8
	v_mov_b32_e32 v4, s8
	s_add_i32 s7, s4, s6
	v_mad_u64_u32 v[10:11], s[4:5], s2, v4, v[2:3]
	v_add_u32_e32 v6, s6, v11
	v_addc_co_u32_e32 v9, vcc, v19, v5, vcc
	v_mad_u64_u32 v[4:5], s[4:5], v10, s2, 0
	v_mul_lo_u32 v11, v10, s3
	v_mul_lo_u32 v26, v6, s2
	v_add3_u32 v5, v5, v11, v26
	s_mul_i32 s9, s2, s8
	v_lshlrev_b64 v[4:5], 3, v[4:5]
	v_add_co_u32_e32 v12, vcc, v18, v4
	s_sub_u32 s4, s9, s2
	v_addc_co_u32_e32 v13, vcc, v19, v5, vcc
	s_subb_u32 s5, s7, s3
	global_load_dwordx2 v[14:15], v[8:9], off offset:8
	global_load_dwordx4 v[4:7], v[12:13], off
	v_mov_b32_e32 v8, s5
	v_add_co_u32_e32 v2, vcc, s4, v2
	v_addc_co_u32_e32 v3, vcc, v8, v3, vcc
	v_mul_lo_u32 v8, v3, s2
	v_mul_lo_u32 v9, v2, s3
	v_mad_u64_u32 v[2:3], s[4:5], v2, s2, 0
	v_add3_u32 v3, v3, v9, v8
	v_pk_mov_b32 v[8:9], s[2:3], s[2:3] op_sel:[0,1]
	v_lshlrev_b64 v[2:3], 3, v[2:3]
	v_mad_u64_u32 v[8:9], s[4:5], v10, s2, v[8:9]
	v_add_co_u32_e32 v2, vcc, v18, v2
	v_add3_u32 v9, v26, v9, v11
	v_addc_co_u32_e32 v3, vcc, v19, v3, vcc
	v_lshlrev_b64 v[16:17], 3, v[8:9]
	v_add_co_u32_e32 v16, vcc, v18, v16
	v_addc_co_u32_e32 v17, vcc, v19, v17, vcc
	s_lshl_b64 s[4:5], s[2:3], 1
	v_mov_b32_e32 v20, s5
	v_subrev_co_u32_e32 v8, vcc, s4, v8
	v_subb_co_u32_e32 v9, vcc, v9, v20, vcc
	v_lshlrev_b64 v[8:9], 3, v[8:9]
	v_add_co_u32_e32 v8, vcc, v18, v8
	v_addc_co_u32_e32 v9, vcc, v19, v9, vcc
	global_load_dwordx2 v[18:19], v[2:3], off offset:8
	global_load_dwordx2 v[20:21], v[16:17], off offset:8
	;; [unrolled: 1-line block ×4, first 2 shown]
	v_mad_u64_u32 v[0:1], s[2:3], v10, s2, v[0:1]
	v_add3_u32 v1, v26, v1, v11
	v_lshlrev_b64 v[0:1], 3, v[0:1]
	v_add_co_u32_e32 v0, vcc, s0, v0
	s_waitcnt vmcnt(4)
	v_fmac_f64_e32 v[14:15], -2.0, v[6:7]
	s_waitcnt vmcnt(3)
	v_add_f64 v[2:3], v[18:19], v[14:15]
	s_waitcnt vmcnt(2)
	v_fmac_f64_e32 v[20:21], -2.0, v[6:7]
	s_waitcnt vmcnt(1)
	v_add_f64 v[8:9], v[20:21], v[22:23]
	v_ldexp_f64 v[8:9], v[8:9], -3
	s_waitcnt vmcnt(0)
	v_fmac_f64_e32 v[24:25], -2.0, v[6:7]
	v_fmac_f64_e32 v[8:9], 0x3fc00000, v[2:3]
	v_add_f64 v[2:3], v[24:25], v[4:5]
	v_fmac_f64_e32 v[8:9], 0x3fc00000, v[2:3]
	v_mov_b32_e32 v4, s1
	v_add_f64 v[2:3], v[6:7], v[8:9]
	v_addc_co_u32_e32 v1, vcc, v4, v1, vcc
	global_store_dwordx2 v[0:1], v[2:3], off offset:8
.LBB3_2:
	s_endpgm
	.section	.rodata,"a",@progbits
	.p2align	6, 0x0
	.amdhsa_kernel _ZN8rajaperf9polybench16poly_heat_3D_lamILm32ELm8ELm1EZNS0_17POLYBENCH_HEAT_3D17runHipVariantImplILm256EEEvNS_9VariantIDEEUllllE0_EEvlT2_
		.amdhsa_group_segment_fixed_size 0
		.amdhsa_private_segment_fixed_size 0
		.amdhsa_kernarg_size 32
		.amdhsa_user_sgpr_count 6
		.amdhsa_user_sgpr_private_segment_buffer 1
		.amdhsa_user_sgpr_dispatch_ptr 0
		.amdhsa_user_sgpr_queue_ptr 0
		.amdhsa_user_sgpr_kernarg_segment_ptr 1
		.amdhsa_user_sgpr_dispatch_id 0
		.amdhsa_user_sgpr_flat_scratch_init 0
		.amdhsa_user_sgpr_kernarg_preload_length 0
		.amdhsa_user_sgpr_kernarg_preload_offset 0
		.amdhsa_user_sgpr_private_segment_size 0
		.amdhsa_uses_dynamic_stack 0
		.amdhsa_system_sgpr_private_segment_wavefront_offset 0
		.amdhsa_system_sgpr_workgroup_id_x 1
		.amdhsa_system_sgpr_workgroup_id_y 1
		.amdhsa_system_sgpr_workgroup_id_z 1
		.amdhsa_system_sgpr_workgroup_info 0
		.amdhsa_system_vgpr_workitem_id 1
		.amdhsa_next_free_vgpr 27
		.amdhsa_next_free_sgpr 12
		.amdhsa_accum_offset 28
		.amdhsa_reserve_vcc 1
		.amdhsa_reserve_flat_scratch 0
		.amdhsa_float_round_mode_32 0
		.amdhsa_float_round_mode_16_64 0
		.amdhsa_float_denorm_mode_32 3
		.amdhsa_float_denorm_mode_16_64 3
		.amdhsa_dx10_clamp 1
		.amdhsa_ieee_mode 1
		.amdhsa_fp16_overflow 0
		.amdhsa_tg_split 0
		.amdhsa_exception_fp_ieee_invalid_op 0
		.amdhsa_exception_fp_denorm_src 0
		.amdhsa_exception_fp_ieee_div_zero 0
		.amdhsa_exception_fp_ieee_overflow 0
		.amdhsa_exception_fp_ieee_underflow 0
		.amdhsa_exception_fp_ieee_inexact 0
		.amdhsa_exception_int_div_zero 0
	.end_amdhsa_kernel
	.section	.text._ZN8rajaperf9polybench16poly_heat_3D_lamILm32ELm8ELm1EZNS0_17POLYBENCH_HEAT_3D17runHipVariantImplILm256EEEvNS_9VariantIDEEUllllE0_EEvlT2_,"axG",@progbits,_ZN8rajaperf9polybench16poly_heat_3D_lamILm32ELm8ELm1EZNS0_17POLYBENCH_HEAT_3D17runHipVariantImplILm256EEEvNS_9VariantIDEEUllllE0_EEvlT2_,comdat
.Lfunc_end3:
	.size	_ZN8rajaperf9polybench16poly_heat_3D_lamILm32ELm8ELm1EZNS0_17POLYBENCH_HEAT_3D17runHipVariantImplILm256EEEvNS_9VariantIDEEUllllE0_EEvlT2_, .Lfunc_end3-_ZN8rajaperf9polybench16poly_heat_3D_lamILm32ELm8ELm1EZNS0_17POLYBENCH_HEAT_3D17runHipVariantImplILm256EEEvNS_9VariantIDEEUllllE0_EEvlT2_
                                        ; -- End function
	.section	.AMDGPU.csdata,"",@progbits
; Kernel info:
; codeLenInByte = 680
; NumSgprs: 16
; NumVgprs: 27
; NumAgprs: 0
; TotalNumVgprs: 27
; ScratchSize: 0
; MemoryBound: 0
; FloatMode: 240
; IeeeMode: 1
; LDSByteSize: 0 bytes/workgroup (compile time only)
; SGPRBlocks: 1
; VGPRBlocks: 3
; NumSGPRsForWavesPerEU: 16
; NumVGPRsForWavesPerEU: 27
; AccumOffset: 28
; Occupancy: 8
; WaveLimiterHint : 0
; COMPUTE_PGM_RSRC2:SCRATCH_EN: 0
; COMPUTE_PGM_RSRC2:USER_SGPR: 6
; COMPUTE_PGM_RSRC2:TRAP_HANDLER: 0
; COMPUTE_PGM_RSRC2:TGID_X_EN: 1
; COMPUTE_PGM_RSRC2:TGID_Y_EN: 1
; COMPUTE_PGM_RSRC2:TGID_Z_EN: 1
; COMPUTE_PGM_RSRC2:TIDIG_COMP_CNT: 1
; COMPUTE_PGM_RSRC3_GFX90A:ACCUM_OFFSET: 6
; COMPUTE_PGM_RSRC3_GFX90A:TG_SPLIT: 0
	.section	.text._ZN4RAJA8internal22HipKernelLauncherFixedILi256ENS0_8LoopDataIN4camp5tupleIJNS_4SpanINS_9Iterators16numeric_iteratorIllPlEElEESA_SA_EEENS4_IJEEENS3_9resources2v13HipEJZN8rajaperf9polybench17POLYBENCH_HEAT_3D17runHipVariantImplILm256EEEvNSG_9VariantIDEEUllllE1_EEENS0_24HipStatementListExecutorISM_NS3_4listIJNS_9statement3ForILl0ENS_6policy3hip11hip_indexerINS_17iteration_mapping6DirectELNS_23kernel_sync_requirementE0EJNS_3hip11IndexGlobalILNS_9named_dimE2ELin1ELi0EEEEEEJNSQ_ILl1ENST_ISV_LSW_0EJNSY_ILSZ_1ELi8ELi0EEEEEEJNSQ_ILl2ENST_ISV_LSW_0EJNSY_ILSZ_0ELi32ELi0EEEEEEJNSP_6LambdaILl0EJEEEEEEEEEEEEEEENS0_9LoopTypesINSO_IJvvvEEES1D_EEEEEEvT0_,"axG",@progbits,_ZN4RAJA8internal22HipKernelLauncherFixedILi256ENS0_8LoopDataIN4camp5tupleIJNS_4SpanINS_9Iterators16numeric_iteratorIllPlEElEESA_SA_EEENS4_IJEEENS3_9resources2v13HipEJZN8rajaperf9polybench17POLYBENCH_HEAT_3D17runHipVariantImplILm256EEEvNSG_9VariantIDEEUllllE1_EEENS0_24HipStatementListExecutorISM_NS3_4listIJNS_9statement3ForILl0ENS_6policy3hip11hip_indexerINS_17iteration_mapping6DirectELNS_23kernel_sync_requirementE0EJNS_3hip11IndexGlobalILNS_9named_dimE2ELin1ELi0EEEEEEJNSQ_ILl1ENST_ISV_LSW_0EJNSY_ILSZ_1ELi8ELi0EEEEEEJNSQ_ILl2ENST_ISV_LSW_0EJNSY_ILSZ_0ELi32ELi0EEEEEEJNSP_6LambdaILl0EJEEEEEEEEEEEEEEENS0_9LoopTypesINSO_IJvvvEEES1D_EEEEEEvT0_,comdat
	.protected	_ZN4RAJA8internal22HipKernelLauncherFixedILi256ENS0_8LoopDataIN4camp5tupleIJNS_4SpanINS_9Iterators16numeric_iteratorIllPlEElEESA_SA_EEENS4_IJEEENS3_9resources2v13HipEJZN8rajaperf9polybench17POLYBENCH_HEAT_3D17runHipVariantImplILm256EEEvNSG_9VariantIDEEUllllE1_EEENS0_24HipStatementListExecutorISM_NS3_4listIJNS_9statement3ForILl0ENS_6policy3hip11hip_indexerINS_17iteration_mapping6DirectELNS_23kernel_sync_requirementE0EJNS_3hip11IndexGlobalILNS_9named_dimE2ELin1ELi0EEEEEEJNSQ_ILl1ENST_ISV_LSW_0EJNSY_ILSZ_1ELi8ELi0EEEEEEJNSQ_ILl2ENST_ISV_LSW_0EJNSY_ILSZ_0ELi32ELi0EEEEEEJNSP_6LambdaILl0EJEEEEEEEEEEEEEEENS0_9LoopTypesINSO_IJvvvEEES1D_EEEEEEvT0_ ; -- Begin function _ZN4RAJA8internal22HipKernelLauncherFixedILi256ENS0_8LoopDataIN4camp5tupleIJNS_4SpanINS_9Iterators16numeric_iteratorIllPlEElEESA_SA_EEENS4_IJEEENS3_9resources2v13HipEJZN8rajaperf9polybench17POLYBENCH_HEAT_3D17runHipVariantImplILm256EEEvNSG_9VariantIDEEUllllE1_EEENS0_24HipStatementListExecutorISM_NS3_4listIJNS_9statement3ForILl0ENS_6policy3hip11hip_indexerINS_17iteration_mapping6DirectELNS_23kernel_sync_requirementE0EJNS_3hip11IndexGlobalILNS_9named_dimE2ELin1ELi0EEEEEEJNSQ_ILl1ENST_ISV_LSW_0EJNSY_ILSZ_1ELi8ELi0EEEEEEJNSQ_ILl2ENST_ISV_LSW_0EJNSY_ILSZ_0ELi32ELi0EEEEEEJNSP_6LambdaILl0EJEEEEEEEEEEEEEEENS0_9LoopTypesINSO_IJvvvEEES1D_EEEEEEvT0_
	.globl	_ZN4RAJA8internal22HipKernelLauncherFixedILi256ENS0_8LoopDataIN4camp5tupleIJNS_4SpanINS_9Iterators16numeric_iteratorIllPlEElEESA_SA_EEENS4_IJEEENS3_9resources2v13HipEJZN8rajaperf9polybench17POLYBENCH_HEAT_3D17runHipVariantImplILm256EEEvNSG_9VariantIDEEUllllE1_EEENS0_24HipStatementListExecutorISM_NS3_4listIJNS_9statement3ForILl0ENS_6policy3hip11hip_indexerINS_17iteration_mapping6DirectELNS_23kernel_sync_requirementE0EJNS_3hip11IndexGlobalILNS_9named_dimE2ELin1ELi0EEEEEEJNSQ_ILl1ENST_ISV_LSW_0EJNSY_ILSZ_1ELi8ELi0EEEEEEJNSQ_ILl2ENST_ISV_LSW_0EJNSY_ILSZ_0ELi32ELi0EEEEEEJNSP_6LambdaILl0EJEEEEEEEEEEEEEEENS0_9LoopTypesINSO_IJvvvEEES1D_EEEEEEvT0_
	.p2align	8
	.type	_ZN4RAJA8internal22HipKernelLauncherFixedILi256ENS0_8LoopDataIN4camp5tupleIJNS_4SpanINS_9Iterators16numeric_iteratorIllPlEElEESA_SA_EEENS4_IJEEENS3_9resources2v13HipEJZN8rajaperf9polybench17POLYBENCH_HEAT_3D17runHipVariantImplILm256EEEvNSG_9VariantIDEEUllllE1_EEENS0_24HipStatementListExecutorISM_NS3_4listIJNS_9statement3ForILl0ENS_6policy3hip11hip_indexerINS_17iteration_mapping6DirectELNS_23kernel_sync_requirementE0EJNS_3hip11IndexGlobalILNS_9named_dimE2ELin1ELi0EEEEEEJNSQ_ILl1ENST_ISV_LSW_0EJNSY_ILSZ_1ELi8ELi0EEEEEEJNSQ_ILl2ENST_ISV_LSW_0EJNSY_ILSZ_0ELi32ELi0EEEEEEJNSP_6LambdaILl0EJEEEEEEEEEEEEEEENS0_9LoopTypesINSO_IJvvvEEES1D_EEEEEEvT0_,@function
_ZN4RAJA8internal22HipKernelLauncherFixedILi256ENS0_8LoopDataIN4camp5tupleIJNS_4SpanINS_9Iterators16numeric_iteratorIllPlEElEESA_SA_EEENS4_IJEEENS3_9resources2v13HipEJZN8rajaperf9polybench17POLYBENCH_HEAT_3D17runHipVariantImplILm256EEEvNSG_9VariantIDEEUllllE1_EEENS0_24HipStatementListExecutorISM_NS3_4listIJNS_9statement3ForILl0ENS_6policy3hip11hip_indexerINS_17iteration_mapping6DirectELNS_23kernel_sync_requirementE0EJNS_3hip11IndexGlobalILNS_9named_dimE2ELin1ELi0EEEEEEJNSQ_ILl1ENST_ISV_LSW_0EJNSY_ILSZ_1ELi8ELi0EEEEEEJNSQ_ILl2ENST_ISV_LSW_0EJNSY_ILSZ_0ELi32ELi0EEEEEEJNSP_6LambdaILl0EJEEEEEEEEEEEEEEENS0_9LoopTypesINSO_IJvvvEEES1D_EEEEEEvT0_: ; @_ZN4RAJA8internal22HipKernelLauncherFixedILi256ENS0_8LoopDataIN4camp5tupleIJNS_4SpanINS_9Iterators16numeric_iteratorIllPlEElEESA_SA_EEENS4_IJEEENS3_9resources2v13HipEJZN8rajaperf9polybench17POLYBENCH_HEAT_3D17runHipVariantImplILm256EEEvNSG_9VariantIDEEUllllE1_EEENS0_24HipStatementListExecutorISM_NS3_4listIJNS_9statement3ForILl0ENS_6policy3hip11hip_indexerINS_17iteration_mapping6DirectELNS_23kernel_sync_requirementE0EJNS_3hip11IndexGlobalILNS_9named_dimE2ELin1ELi0EEEEEEJNSQ_ILl1ENST_ISV_LSW_0EJNSY_ILSZ_1ELi8ELi0EEEEEEJNSQ_ILl2ENST_ISV_LSW_0EJNSY_ILSZ_0ELi32ELi0EEEEEEJNSP_6LambdaILl0EJEEEEEEEEEEEEEEENS0_9LoopTypesINSO_IJvvvEEES1D_EEEEEEvT0_
; %bb.0:
	s_load_dwordx8 s[12:19], s[4:5], 0x0
	s_load_dwordx4 s[20:23], s[4:5], 0x20
	s_mov_b32 s9, 0
	v_pk_mov_b32 v[2:3], s[8:9], s[8:9] op_sel:[0,1]
	s_mov_b32 s0, s7
	s_waitcnt lgkmcnt(0)
	s_sub_u32 s2, s14, s12
	s_subb_u32 s3, s15, s13
	v_cmp_gt_i64_e32 vcc, s[2:3], v[2:3]
	s_sub_u32 s2, s18, s16
	s_mov_b32 s1, s9
	s_subb_u32 s3, s19, s17
	v_bfe_u32 v1, v0, 10, 10
	s_lshl_b64 s[0:1], s[0:1], 3
	v_mov_b32_e32 v3, s1
	v_add_co_u32_e64 v2, s[0:1], s0, v1
	v_addc_co_u32_e64 v3, s[0:1], 0, v3, s[0:1]
	s_sub_u32 s10, s22, s20
	s_mov_b32 s7, s9
	v_cmp_gt_i64_e64 s[0:1], s[2:3], v[2:3]
	s_subb_u32 s11, s23, s21
	v_and_b32_e32 v0, 0x3ff, v0
	s_lshl_b64 s[2:3], s[6:7], 5
	v_mov_b32_e32 v1, s3
	v_add_co_u32_e64 v0, s[2:3], s2, v0
	v_addc_co_u32_e64 v1, s[2:3], 0, v1, s[2:3]
	v_cmp_gt_i64_e64 s[2:3], s[10:11], v[0:1]
	s_and_b64 s[0:1], s[0:1], s[2:3]
	s_and_b64 s[0:1], s[0:1], vcc
	s_and_saveexec_b64 s[2:3], s[0:1]
	s_cbranch_execz .LBB4_2
; %bb.1:
	s_load_dwordx4 s[0:3], s[4:5], 0xd0
	s_load_dwordx2 s[6:7], s[4:5], 0xb0
	s_add_u32 s12, s12, s8
	s_addc_u32 s13, s13, 0
	s_add_u32 s8, s12, 1
	v_mov_b32_e32 v4, s17
	v_add_co_u32_e32 v24, vcc, s16, v2
	s_addc_u32 s9, s13, 0
	v_addc_co_u32_e32 v25, vcc, v4, v3, vcc
	s_waitcnt lgkmcnt(0)
	s_mul_i32 s9, s0, s9
	s_mul_hi_u32 s10, s0, s8
	v_mov_b32_e32 v2, s21
	v_add_co_u32_e32 v0, vcc, s20, v0
	s_add_i32 s9, s10, s9
	s_mul_i32 s10, s1, s8
	v_addc_co_u32_e32 v1, vcc, v2, v1, vcc
	s_add_i32 s9, s9, s10
	v_mul_lo_u32 v14, s3, v24
	v_mul_lo_u32 v15, s2, v25
	v_mad_u64_u32 v[2:3], s[10:11], s2, v24, 0
	v_add3_u32 v3, v3, v15, v14
	v_lshlrev_b64 v[2:3], 3, v[2:3]
	s_mul_i32 s8, s0, s8
	v_mov_b32_e32 v4, s7
	v_add_co_u32_e32 v12, vcc, s6, v2
	v_addc_co_u32_e32 v13, vcc, v4, v3, vcc
	s_lshl_b64 s[8:9], s[8:9], 3
	v_mov_b32_e32 v2, s9
	v_add_co_u32_e32 v3, vcc, s8, v12
	s_mul_i32 s8, s0, s13
	s_mul_hi_u32 s9, s0, s12
	v_addc_co_u32_e32 v2, vcc, v13, v2, vcc
	v_lshlrev_b64 v[4:5], 3, v[0:1]
	s_add_i32 s8, s9, s8
	s_mul_i32 s9, s1, s12
	v_add_co_u32_e32 v6, vcc, v3, v4
	s_add_i32 s9, s8, s9
	s_mul_i32 s8, s0, s12
	v_addc_co_u32_e32 v7, vcc, v2, v5, vcc
	s_lshl_b64 s[10:11], s[8:9], 3
	v_mov_b32_e32 v0, s11
	v_add_co_u32_e32 v1, vcc, s10, v12
	v_addc_co_u32_e32 v0, vcc, v13, v0, vcc
	s_sub_u32 s0, s8, s0
	v_add_co_u32_e32 v8, vcc, v1, v4
	s_subb_u32 s1, s9, s1
	v_addc_co_u32_e32 v9, vcc, v0, v5, vcc
	s_lshl_b64 s[0:1], s[0:1], 3
	global_load_dwordx2 v[10:11], v[6:7], off
	global_load_dwordx4 v[0:3], v[8:9], off offset:-8
	v_mov_b32_e32 v6, s1
	v_add_co_u32_e32 v7, vcc, s0, v12
	v_addc_co_u32_e32 v12, vcc, v13, v6, vcc
	v_add_co_u32_e32 v6, vcc, v7, v4
	v_addc_co_u32_e32 v7, vcc, v12, v5, vcc
	v_pk_mov_b32 v[12:13], s[2:3], s[2:3] op_sel:[0,1]
	v_mad_u64_u32 v[12:13], s[0:1], s2, v24, v[12:13]
	s_lshl_b64 s[0:1], s[2:3], 3
	v_add3_u32 v13, v14, v13, v15
	v_mov_b32_e32 v15, s1
	v_add_co_u32_e32 v14, vcc, s0, v8
	v_addc_co_u32_e32 v15, vcc, v9, v15, vcc
	s_lshl_b64 s[0:1], s[2:3], 1
	v_mov_b32_e32 v16, s1
	v_subrev_co_u32_e32 v12, vcc, s0, v12
	v_subb_co_u32_e32 v13, vcc, v13, v16, vcc
	s_add_u32 s0, s10, s6
	v_lshlrev_b64 v[12:13], 3, v[12:13]
	s_addc_u32 s1, s11, s7
	v_mov_b32_e32 v16, s1
	v_add_co_u32_e32 v12, vcc, s0, v12
	v_addc_co_u32_e32 v13, vcc, v16, v13, vcc
	v_add_co_u32_e32 v12, vcc, v12, v4
	v_addc_co_u32_e32 v13, vcc, v13, v5, vcc
	global_load_dwordx2 v[16:17], v[6:7], off
	global_load_dwordx2 v[18:19], v[14:15], off
	;; [unrolled: 1-line block ×3, first 2 shown]
	global_load_dwordx2 v[22:23], v[8:9], off offset:8
	s_load_dwordx2 s[6:7], s[4:5], 0x48
	s_load_dwordx4 s[0:3], s[4:5], 0x68
	s_waitcnt lgkmcnt(0)
	s_mul_i32 s4, s0, s13
	s_mul_hi_u32 s5, s0, s12
	s_add_i32 s4, s5, s4
	s_mul_i32 s1, s1, s12
	s_add_i32 s1, s4, s1
	s_mul_i32 s0, s0, s12
	s_lshl_b64 s[0:1], s[0:1], 3
	s_add_u32 s0, s0, s6
	s_addc_u32 s1, s1, s7
	s_waitcnt vmcnt(4)
	v_fmac_f64_e32 v[10:11], -2.0, v[2:3]
	s_waitcnt vmcnt(3)
	v_add_f64 v[6:7], v[16:17], v[10:11]
	s_waitcnt vmcnt(2)
	v_fmac_f64_e32 v[18:19], -2.0, v[2:3]
	s_waitcnt vmcnt(1)
	v_add_f64 v[8:9], v[18:19], v[20:21]
	v_ldexp_f64 v[8:9], v[8:9], -3
	s_waitcnt vmcnt(0)
	v_fmac_f64_e32 v[22:23], -2.0, v[2:3]
	v_fmac_f64_e32 v[8:9], 0x3fc00000, v[6:7]
	v_add_f64 v[0:1], v[22:23], v[0:1]
	v_fmac_f64_e32 v[8:9], 0x3fc00000, v[0:1]
	v_add_f64 v[0:1], v[2:3], v[8:9]
	v_mul_lo_u32 v6, s3, v24
	v_mul_lo_u32 v7, s2, v25
	v_mad_u64_u32 v[2:3], s[2:3], s2, v24, 0
	v_add3_u32 v3, v3, v7, v6
	v_lshlrev_b64 v[2:3], 3, v[2:3]
	v_mov_b32_e32 v6, s1
	v_add_co_u32_e32 v2, vcc, s0, v2
	v_addc_co_u32_e32 v3, vcc, v6, v3, vcc
	v_add_co_u32_e32 v2, vcc, v2, v4
	v_addc_co_u32_e32 v3, vcc, v3, v5, vcc
	global_store_dwordx2 v[2:3], v[0:1], off
.LBB4_2:
	s_endpgm
	.section	.rodata,"a",@progbits
	.p2align	6, 0x0
	.amdhsa_kernel _ZN4RAJA8internal22HipKernelLauncherFixedILi256ENS0_8LoopDataIN4camp5tupleIJNS_4SpanINS_9Iterators16numeric_iteratorIllPlEElEESA_SA_EEENS4_IJEEENS3_9resources2v13HipEJZN8rajaperf9polybench17POLYBENCH_HEAT_3D17runHipVariantImplILm256EEEvNSG_9VariantIDEEUllllE1_EEENS0_24HipStatementListExecutorISM_NS3_4listIJNS_9statement3ForILl0ENS_6policy3hip11hip_indexerINS_17iteration_mapping6DirectELNS_23kernel_sync_requirementE0EJNS_3hip11IndexGlobalILNS_9named_dimE2ELin1ELi0EEEEEEJNSQ_ILl1ENST_ISV_LSW_0EJNSY_ILSZ_1ELi8ELi0EEEEEEJNSQ_ILl2ENST_ISV_LSW_0EJNSY_ILSZ_0ELi32ELi0EEEEEEJNSP_6LambdaILl0EJEEEEEEEEEEEEEEENS0_9LoopTypesINSO_IJvvvEEES1D_EEEEEEvT0_
		.amdhsa_group_segment_fixed_size 0
		.amdhsa_private_segment_fixed_size 0
		.amdhsa_kernarg_size 320
		.amdhsa_user_sgpr_count 6
		.amdhsa_user_sgpr_private_segment_buffer 1
		.amdhsa_user_sgpr_dispatch_ptr 0
		.amdhsa_user_sgpr_queue_ptr 0
		.amdhsa_user_sgpr_kernarg_segment_ptr 1
		.amdhsa_user_sgpr_dispatch_id 0
		.amdhsa_user_sgpr_flat_scratch_init 0
		.amdhsa_user_sgpr_kernarg_preload_length 0
		.amdhsa_user_sgpr_kernarg_preload_offset 0
		.amdhsa_user_sgpr_private_segment_size 0
		.amdhsa_uses_dynamic_stack 0
		.amdhsa_system_sgpr_private_segment_wavefront_offset 0
		.amdhsa_system_sgpr_workgroup_id_x 1
		.amdhsa_system_sgpr_workgroup_id_y 1
		.amdhsa_system_sgpr_workgroup_id_z 1
		.amdhsa_system_sgpr_workgroup_info 0
		.amdhsa_system_vgpr_workitem_id 1
		.amdhsa_next_free_vgpr 26
		.amdhsa_next_free_sgpr 24
		.amdhsa_accum_offset 28
		.amdhsa_reserve_vcc 1
		.amdhsa_reserve_flat_scratch 0
		.amdhsa_float_round_mode_32 0
		.amdhsa_float_round_mode_16_64 0
		.amdhsa_float_denorm_mode_32 3
		.amdhsa_float_denorm_mode_16_64 3
		.amdhsa_dx10_clamp 1
		.amdhsa_ieee_mode 1
		.amdhsa_fp16_overflow 0
		.amdhsa_tg_split 0
		.amdhsa_exception_fp_ieee_invalid_op 0
		.amdhsa_exception_fp_denorm_src 0
		.amdhsa_exception_fp_ieee_div_zero 0
		.amdhsa_exception_fp_ieee_overflow 0
		.amdhsa_exception_fp_ieee_underflow 0
		.amdhsa_exception_fp_ieee_inexact 0
		.amdhsa_exception_int_div_zero 0
	.end_amdhsa_kernel
	.section	.text._ZN4RAJA8internal22HipKernelLauncherFixedILi256ENS0_8LoopDataIN4camp5tupleIJNS_4SpanINS_9Iterators16numeric_iteratorIllPlEElEESA_SA_EEENS4_IJEEENS3_9resources2v13HipEJZN8rajaperf9polybench17POLYBENCH_HEAT_3D17runHipVariantImplILm256EEEvNSG_9VariantIDEEUllllE1_EEENS0_24HipStatementListExecutorISM_NS3_4listIJNS_9statement3ForILl0ENS_6policy3hip11hip_indexerINS_17iteration_mapping6DirectELNS_23kernel_sync_requirementE0EJNS_3hip11IndexGlobalILNS_9named_dimE2ELin1ELi0EEEEEEJNSQ_ILl1ENST_ISV_LSW_0EJNSY_ILSZ_1ELi8ELi0EEEEEEJNSQ_ILl2ENST_ISV_LSW_0EJNSY_ILSZ_0ELi32ELi0EEEEEEJNSP_6LambdaILl0EJEEEEEEEEEEEEEEENS0_9LoopTypesINSO_IJvvvEEES1D_EEEEEEvT0_,"axG",@progbits,_ZN4RAJA8internal22HipKernelLauncherFixedILi256ENS0_8LoopDataIN4camp5tupleIJNS_4SpanINS_9Iterators16numeric_iteratorIllPlEElEESA_SA_EEENS4_IJEEENS3_9resources2v13HipEJZN8rajaperf9polybench17POLYBENCH_HEAT_3D17runHipVariantImplILm256EEEvNSG_9VariantIDEEUllllE1_EEENS0_24HipStatementListExecutorISM_NS3_4listIJNS_9statement3ForILl0ENS_6policy3hip11hip_indexerINS_17iteration_mapping6DirectELNS_23kernel_sync_requirementE0EJNS_3hip11IndexGlobalILNS_9named_dimE2ELin1ELi0EEEEEEJNSQ_ILl1ENST_ISV_LSW_0EJNSY_ILSZ_1ELi8ELi0EEEEEEJNSQ_ILl2ENST_ISV_LSW_0EJNSY_ILSZ_0ELi32ELi0EEEEEEJNSP_6LambdaILl0EJEEEEEEEEEEEEEEENS0_9LoopTypesINSO_IJvvvEEES1D_EEEEEEvT0_,comdat
.Lfunc_end4:
	.size	_ZN4RAJA8internal22HipKernelLauncherFixedILi256ENS0_8LoopDataIN4camp5tupleIJNS_4SpanINS_9Iterators16numeric_iteratorIllPlEElEESA_SA_EEENS4_IJEEENS3_9resources2v13HipEJZN8rajaperf9polybench17POLYBENCH_HEAT_3D17runHipVariantImplILm256EEEvNSG_9VariantIDEEUllllE1_EEENS0_24HipStatementListExecutorISM_NS3_4listIJNS_9statement3ForILl0ENS_6policy3hip11hip_indexerINS_17iteration_mapping6DirectELNS_23kernel_sync_requirementE0EJNS_3hip11IndexGlobalILNS_9named_dimE2ELin1ELi0EEEEEEJNSQ_ILl1ENST_ISV_LSW_0EJNSY_ILSZ_1ELi8ELi0EEEEEEJNSQ_ILl2ENST_ISV_LSW_0EJNSY_ILSZ_0ELi32ELi0EEEEEEJNSP_6LambdaILl0EJEEEEEEEEEEEEEEENS0_9LoopTypesINSO_IJvvvEEES1D_EEEEEEvT0_, .Lfunc_end4-_ZN4RAJA8internal22HipKernelLauncherFixedILi256ENS0_8LoopDataIN4camp5tupleIJNS_4SpanINS_9Iterators16numeric_iteratorIllPlEElEESA_SA_EEENS4_IJEEENS3_9resources2v13HipEJZN8rajaperf9polybench17POLYBENCH_HEAT_3D17runHipVariantImplILm256EEEvNSG_9VariantIDEEUllllE1_EEENS0_24HipStatementListExecutorISM_NS3_4listIJNS_9statement3ForILl0ENS_6policy3hip11hip_indexerINS_17iteration_mapping6DirectELNS_23kernel_sync_requirementE0EJNS_3hip11IndexGlobalILNS_9named_dimE2ELin1ELi0EEEEEEJNSQ_ILl1ENST_ISV_LSW_0EJNSY_ILSZ_1ELi8ELi0EEEEEEJNSQ_ILl2ENST_ISV_LSW_0EJNSY_ILSZ_0ELi32ELi0EEEEEEJNSP_6LambdaILl0EJEEEEEEEEEEEEEEENS0_9LoopTypesINSO_IJvvvEEES1D_EEEEEEvT0_
                                        ; -- End function
	.section	.AMDGPU.csdata,"",@progbits
; Kernel info:
; codeLenInByte = 772
; NumSgprs: 28
; NumVgprs: 26
; NumAgprs: 0
; TotalNumVgprs: 26
; ScratchSize: 0
; MemoryBound: 0
; FloatMode: 240
; IeeeMode: 1
; LDSByteSize: 0 bytes/workgroup (compile time only)
; SGPRBlocks: 3
; VGPRBlocks: 3
; NumSGPRsForWavesPerEU: 28
; NumVGPRsForWavesPerEU: 26
; AccumOffset: 28
; Occupancy: 8
; WaveLimiterHint : 1
; COMPUTE_PGM_RSRC2:SCRATCH_EN: 0
; COMPUTE_PGM_RSRC2:USER_SGPR: 6
; COMPUTE_PGM_RSRC2:TRAP_HANDLER: 0
; COMPUTE_PGM_RSRC2:TGID_X_EN: 1
; COMPUTE_PGM_RSRC2:TGID_Y_EN: 1
; COMPUTE_PGM_RSRC2:TGID_Z_EN: 1
; COMPUTE_PGM_RSRC2:TIDIG_COMP_CNT: 1
; COMPUTE_PGM_RSRC3_GFX90A:ACCUM_OFFSET: 6
; COMPUTE_PGM_RSRC3_GFX90A:TG_SPLIT: 0
	.section	.text._ZN4RAJA8internal22HipKernelLauncherFixedILi256ENS0_8LoopDataIN4camp5tupleIJNS_4SpanINS_9Iterators16numeric_iteratorIllPlEElEESA_SA_EEENS4_IJEEENS3_9resources2v13HipEJZN8rajaperf9polybench17POLYBENCH_HEAT_3D17runHipVariantImplILm256EEEvNSG_9VariantIDEEUllllE2_EEENS0_24HipStatementListExecutorISM_NS3_4listIJNS_9statement3ForILl0ENS_6policy3hip11hip_indexerINS_17iteration_mapping6DirectELNS_23kernel_sync_requirementE0EJNS_3hip11IndexGlobalILNS_9named_dimE2ELin1ELi0EEEEEEJNSQ_ILl1ENST_ISV_LSW_0EJNSY_ILSZ_1ELi8ELi0EEEEEEJNSQ_ILl2ENST_ISV_LSW_0EJNSY_ILSZ_0ELi32ELi0EEEEEEJNSP_6LambdaILl0EJEEEEEEEEEEEEEEENS0_9LoopTypesINSO_IJvvvEEES1D_EEEEEEvT0_,"axG",@progbits,_ZN4RAJA8internal22HipKernelLauncherFixedILi256ENS0_8LoopDataIN4camp5tupleIJNS_4SpanINS_9Iterators16numeric_iteratorIllPlEElEESA_SA_EEENS4_IJEEENS3_9resources2v13HipEJZN8rajaperf9polybench17POLYBENCH_HEAT_3D17runHipVariantImplILm256EEEvNSG_9VariantIDEEUllllE2_EEENS0_24HipStatementListExecutorISM_NS3_4listIJNS_9statement3ForILl0ENS_6policy3hip11hip_indexerINS_17iteration_mapping6DirectELNS_23kernel_sync_requirementE0EJNS_3hip11IndexGlobalILNS_9named_dimE2ELin1ELi0EEEEEEJNSQ_ILl1ENST_ISV_LSW_0EJNSY_ILSZ_1ELi8ELi0EEEEEEJNSQ_ILl2ENST_ISV_LSW_0EJNSY_ILSZ_0ELi32ELi0EEEEEEJNSP_6LambdaILl0EJEEEEEEEEEEEEEEENS0_9LoopTypesINSO_IJvvvEEES1D_EEEEEEvT0_,comdat
	.protected	_ZN4RAJA8internal22HipKernelLauncherFixedILi256ENS0_8LoopDataIN4camp5tupleIJNS_4SpanINS_9Iterators16numeric_iteratorIllPlEElEESA_SA_EEENS4_IJEEENS3_9resources2v13HipEJZN8rajaperf9polybench17POLYBENCH_HEAT_3D17runHipVariantImplILm256EEEvNSG_9VariantIDEEUllllE2_EEENS0_24HipStatementListExecutorISM_NS3_4listIJNS_9statement3ForILl0ENS_6policy3hip11hip_indexerINS_17iteration_mapping6DirectELNS_23kernel_sync_requirementE0EJNS_3hip11IndexGlobalILNS_9named_dimE2ELin1ELi0EEEEEEJNSQ_ILl1ENST_ISV_LSW_0EJNSY_ILSZ_1ELi8ELi0EEEEEEJNSQ_ILl2ENST_ISV_LSW_0EJNSY_ILSZ_0ELi32ELi0EEEEEEJNSP_6LambdaILl0EJEEEEEEEEEEEEEEENS0_9LoopTypesINSO_IJvvvEEES1D_EEEEEEvT0_ ; -- Begin function _ZN4RAJA8internal22HipKernelLauncherFixedILi256ENS0_8LoopDataIN4camp5tupleIJNS_4SpanINS_9Iterators16numeric_iteratorIllPlEElEESA_SA_EEENS4_IJEEENS3_9resources2v13HipEJZN8rajaperf9polybench17POLYBENCH_HEAT_3D17runHipVariantImplILm256EEEvNSG_9VariantIDEEUllllE2_EEENS0_24HipStatementListExecutorISM_NS3_4listIJNS_9statement3ForILl0ENS_6policy3hip11hip_indexerINS_17iteration_mapping6DirectELNS_23kernel_sync_requirementE0EJNS_3hip11IndexGlobalILNS_9named_dimE2ELin1ELi0EEEEEEJNSQ_ILl1ENST_ISV_LSW_0EJNSY_ILSZ_1ELi8ELi0EEEEEEJNSQ_ILl2ENST_ISV_LSW_0EJNSY_ILSZ_0ELi32ELi0EEEEEEJNSP_6LambdaILl0EJEEEEEEEEEEEEEEENS0_9LoopTypesINSO_IJvvvEEES1D_EEEEEEvT0_
	.globl	_ZN4RAJA8internal22HipKernelLauncherFixedILi256ENS0_8LoopDataIN4camp5tupleIJNS_4SpanINS_9Iterators16numeric_iteratorIllPlEElEESA_SA_EEENS4_IJEEENS3_9resources2v13HipEJZN8rajaperf9polybench17POLYBENCH_HEAT_3D17runHipVariantImplILm256EEEvNSG_9VariantIDEEUllllE2_EEENS0_24HipStatementListExecutorISM_NS3_4listIJNS_9statement3ForILl0ENS_6policy3hip11hip_indexerINS_17iteration_mapping6DirectELNS_23kernel_sync_requirementE0EJNS_3hip11IndexGlobalILNS_9named_dimE2ELin1ELi0EEEEEEJNSQ_ILl1ENST_ISV_LSW_0EJNSY_ILSZ_1ELi8ELi0EEEEEEJNSQ_ILl2ENST_ISV_LSW_0EJNSY_ILSZ_0ELi32ELi0EEEEEEJNSP_6LambdaILl0EJEEEEEEEEEEEEEEENS0_9LoopTypesINSO_IJvvvEEES1D_EEEEEEvT0_
	.p2align	8
	.type	_ZN4RAJA8internal22HipKernelLauncherFixedILi256ENS0_8LoopDataIN4camp5tupleIJNS_4SpanINS_9Iterators16numeric_iteratorIllPlEElEESA_SA_EEENS4_IJEEENS3_9resources2v13HipEJZN8rajaperf9polybench17POLYBENCH_HEAT_3D17runHipVariantImplILm256EEEvNSG_9VariantIDEEUllllE2_EEENS0_24HipStatementListExecutorISM_NS3_4listIJNS_9statement3ForILl0ENS_6policy3hip11hip_indexerINS_17iteration_mapping6DirectELNS_23kernel_sync_requirementE0EJNS_3hip11IndexGlobalILNS_9named_dimE2ELin1ELi0EEEEEEJNSQ_ILl1ENST_ISV_LSW_0EJNSY_ILSZ_1ELi8ELi0EEEEEEJNSQ_ILl2ENST_ISV_LSW_0EJNSY_ILSZ_0ELi32ELi0EEEEEEJNSP_6LambdaILl0EJEEEEEEEEEEEEEEENS0_9LoopTypesINSO_IJvvvEEES1D_EEEEEEvT0_,@function
_ZN4RAJA8internal22HipKernelLauncherFixedILi256ENS0_8LoopDataIN4camp5tupleIJNS_4SpanINS_9Iterators16numeric_iteratorIllPlEElEESA_SA_EEENS4_IJEEENS3_9resources2v13HipEJZN8rajaperf9polybench17POLYBENCH_HEAT_3D17runHipVariantImplILm256EEEvNSG_9VariantIDEEUllllE2_EEENS0_24HipStatementListExecutorISM_NS3_4listIJNS_9statement3ForILl0ENS_6policy3hip11hip_indexerINS_17iteration_mapping6DirectELNS_23kernel_sync_requirementE0EJNS_3hip11IndexGlobalILNS_9named_dimE2ELin1ELi0EEEEEEJNSQ_ILl1ENST_ISV_LSW_0EJNSY_ILSZ_1ELi8ELi0EEEEEEJNSQ_ILl2ENST_ISV_LSW_0EJNSY_ILSZ_0ELi32ELi0EEEEEEJNSP_6LambdaILl0EJEEEEEEEEEEEEEEENS0_9LoopTypesINSO_IJvvvEEES1D_EEEEEEvT0_: ; @_ZN4RAJA8internal22HipKernelLauncherFixedILi256ENS0_8LoopDataIN4camp5tupleIJNS_4SpanINS_9Iterators16numeric_iteratorIllPlEElEESA_SA_EEENS4_IJEEENS3_9resources2v13HipEJZN8rajaperf9polybench17POLYBENCH_HEAT_3D17runHipVariantImplILm256EEEvNSG_9VariantIDEEUllllE2_EEENS0_24HipStatementListExecutorISM_NS3_4listIJNS_9statement3ForILl0ENS_6policy3hip11hip_indexerINS_17iteration_mapping6DirectELNS_23kernel_sync_requirementE0EJNS_3hip11IndexGlobalILNS_9named_dimE2ELin1ELi0EEEEEEJNSQ_ILl1ENST_ISV_LSW_0EJNSY_ILSZ_1ELi8ELi0EEEEEEJNSQ_ILl2ENST_ISV_LSW_0EJNSY_ILSZ_0ELi32ELi0EEEEEEJNSP_6LambdaILl0EJEEEEEEEEEEEEEEENS0_9LoopTypesINSO_IJvvvEEES1D_EEEEEEvT0_
; %bb.0:
	s_load_dwordx8 s[12:19], s[4:5], 0x0
	s_load_dwordx4 s[20:23], s[4:5], 0x20
	s_mov_b32 s9, 0
	v_pk_mov_b32 v[2:3], s[8:9], s[8:9] op_sel:[0,1]
	s_mov_b32 s0, s7
	s_waitcnt lgkmcnt(0)
	s_sub_u32 s2, s14, s12
	s_subb_u32 s3, s15, s13
	v_cmp_gt_i64_e32 vcc, s[2:3], v[2:3]
	s_sub_u32 s2, s18, s16
	s_mov_b32 s1, s9
	s_subb_u32 s3, s19, s17
	v_bfe_u32 v1, v0, 10, 10
	s_lshl_b64 s[0:1], s[0:1], 3
	v_mov_b32_e32 v3, s1
	v_add_co_u32_e64 v2, s[0:1], s0, v1
	v_addc_co_u32_e64 v3, s[0:1], 0, v3, s[0:1]
	s_sub_u32 s10, s22, s20
	s_mov_b32 s7, s9
	v_cmp_gt_i64_e64 s[0:1], s[2:3], v[2:3]
	s_subb_u32 s11, s23, s21
	v_and_b32_e32 v0, 0x3ff, v0
	s_lshl_b64 s[2:3], s[6:7], 5
	v_mov_b32_e32 v1, s3
	v_add_co_u32_e64 v0, s[2:3], s2, v0
	v_addc_co_u32_e64 v1, s[2:3], 0, v1, s[2:3]
	v_cmp_gt_i64_e64 s[2:3], s[10:11], v[0:1]
	s_and_b64 s[0:1], s[0:1], s[2:3]
	s_and_b64 s[0:1], s[0:1], vcc
	s_and_saveexec_b64 s[2:3], s[0:1]
	s_cbranch_execz .LBB5_2
; %bb.1:
	s_load_dwordx4 s[0:3], s[4:5], 0xd0
	s_load_dwordx2 s[6:7], s[4:5], 0xb0
	s_add_u32 s12, s12, s8
	s_addc_u32 s13, s13, 0
	s_add_u32 s8, s12, 1
	v_mov_b32_e32 v4, s17
	v_add_co_u32_e32 v24, vcc, s16, v2
	s_addc_u32 s9, s13, 0
	v_addc_co_u32_e32 v25, vcc, v4, v3, vcc
	s_waitcnt lgkmcnt(0)
	s_mul_i32 s9, s0, s9
	s_mul_hi_u32 s10, s0, s8
	v_mov_b32_e32 v2, s21
	v_add_co_u32_e32 v0, vcc, s20, v0
	s_add_i32 s9, s10, s9
	s_mul_i32 s10, s1, s8
	v_addc_co_u32_e32 v1, vcc, v2, v1, vcc
	s_add_i32 s9, s9, s10
	v_mul_lo_u32 v14, s3, v24
	v_mul_lo_u32 v15, s2, v25
	v_mad_u64_u32 v[2:3], s[10:11], s2, v24, 0
	v_add3_u32 v3, v3, v15, v14
	v_lshlrev_b64 v[2:3], 3, v[2:3]
	s_mul_i32 s8, s0, s8
	v_mov_b32_e32 v4, s7
	v_add_co_u32_e32 v12, vcc, s6, v2
	v_addc_co_u32_e32 v13, vcc, v4, v3, vcc
	s_lshl_b64 s[8:9], s[8:9], 3
	v_mov_b32_e32 v2, s9
	v_add_co_u32_e32 v3, vcc, s8, v12
	s_mul_i32 s8, s0, s13
	s_mul_hi_u32 s9, s0, s12
	v_addc_co_u32_e32 v2, vcc, v13, v2, vcc
	v_lshlrev_b64 v[4:5], 3, v[0:1]
	s_add_i32 s8, s9, s8
	s_mul_i32 s9, s1, s12
	v_add_co_u32_e32 v6, vcc, v3, v4
	s_add_i32 s9, s8, s9
	s_mul_i32 s8, s0, s12
	v_addc_co_u32_e32 v7, vcc, v2, v5, vcc
	s_lshl_b64 s[10:11], s[8:9], 3
	v_mov_b32_e32 v0, s11
	v_add_co_u32_e32 v1, vcc, s10, v12
	v_addc_co_u32_e32 v0, vcc, v13, v0, vcc
	s_sub_u32 s0, s8, s0
	v_add_co_u32_e32 v8, vcc, v1, v4
	s_subb_u32 s1, s9, s1
	v_addc_co_u32_e32 v9, vcc, v0, v5, vcc
	s_lshl_b64 s[0:1], s[0:1], 3
	global_load_dwordx2 v[10:11], v[6:7], off
	global_load_dwordx4 v[0:3], v[8:9], off offset:-8
	v_mov_b32_e32 v6, s1
	v_add_co_u32_e32 v7, vcc, s0, v12
	v_addc_co_u32_e32 v12, vcc, v13, v6, vcc
	v_add_co_u32_e32 v6, vcc, v7, v4
	v_addc_co_u32_e32 v7, vcc, v12, v5, vcc
	v_pk_mov_b32 v[12:13], s[2:3], s[2:3] op_sel:[0,1]
	v_mad_u64_u32 v[12:13], s[0:1], s2, v24, v[12:13]
	s_lshl_b64 s[0:1], s[2:3], 3
	v_add3_u32 v13, v14, v13, v15
	v_mov_b32_e32 v15, s1
	v_add_co_u32_e32 v14, vcc, s0, v8
	v_addc_co_u32_e32 v15, vcc, v9, v15, vcc
	s_lshl_b64 s[0:1], s[2:3], 1
	v_mov_b32_e32 v16, s1
	v_subrev_co_u32_e32 v12, vcc, s0, v12
	v_subb_co_u32_e32 v13, vcc, v13, v16, vcc
	s_add_u32 s0, s10, s6
	v_lshlrev_b64 v[12:13], 3, v[12:13]
	s_addc_u32 s1, s11, s7
	v_mov_b32_e32 v16, s1
	v_add_co_u32_e32 v12, vcc, s0, v12
	v_addc_co_u32_e32 v13, vcc, v16, v13, vcc
	v_add_co_u32_e32 v12, vcc, v12, v4
	v_addc_co_u32_e32 v13, vcc, v13, v5, vcc
	global_load_dwordx2 v[16:17], v[6:7], off
	global_load_dwordx2 v[18:19], v[14:15], off
	;; [unrolled: 1-line block ×3, first 2 shown]
	global_load_dwordx2 v[22:23], v[8:9], off offset:8
	s_load_dwordx2 s[6:7], s[4:5], 0x48
	s_load_dwordx4 s[0:3], s[4:5], 0x68
	s_waitcnt lgkmcnt(0)
	s_mul_i32 s4, s0, s13
	s_mul_hi_u32 s5, s0, s12
	s_add_i32 s4, s5, s4
	s_mul_i32 s1, s1, s12
	s_add_i32 s1, s4, s1
	s_mul_i32 s0, s0, s12
	s_lshl_b64 s[0:1], s[0:1], 3
	s_add_u32 s0, s0, s6
	s_addc_u32 s1, s1, s7
	s_waitcnt vmcnt(4)
	v_fmac_f64_e32 v[10:11], -2.0, v[2:3]
	s_waitcnt vmcnt(3)
	v_add_f64 v[6:7], v[16:17], v[10:11]
	s_waitcnt vmcnt(2)
	v_fmac_f64_e32 v[18:19], -2.0, v[2:3]
	s_waitcnt vmcnt(1)
	v_add_f64 v[8:9], v[18:19], v[20:21]
	v_ldexp_f64 v[8:9], v[8:9], -3
	s_waitcnt vmcnt(0)
	v_fmac_f64_e32 v[22:23], -2.0, v[2:3]
	v_fmac_f64_e32 v[8:9], 0x3fc00000, v[6:7]
	v_add_f64 v[0:1], v[22:23], v[0:1]
	v_fmac_f64_e32 v[8:9], 0x3fc00000, v[0:1]
	v_add_f64 v[0:1], v[2:3], v[8:9]
	v_mul_lo_u32 v6, s3, v24
	v_mul_lo_u32 v7, s2, v25
	v_mad_u64_u32 v[2:3], s[2:3], s2, v24, 0
	v_add3_u32 v3, v3, v7, v6
	v_lshlrev_b64 v[2:3], 3, v[2:3]
	v_mov_b32_e32 v6, s1
	v_add_co_u32_e32 v2, vcc, s0, v2
	v_addc_co_u32_e32 v3, vcc, v6, v3, vcc
	v_add_co_u32_e32 v2, vcc, v2, v4
	v_addc_co_u32_e32 v3, vcc, v3, v5, vcc
	global_store_dwordx2 v[2:3], v[0:1], off
.LBB5_2:
	s_endpgm
	.section	.rodata,"a",@progbits
	.p2align	6, 0x0
	.amdhsa_kernel _ZN4RAJA8internal22HipKernelLauncherFixedILi256ENS0_8LoopDataIN4camp5tupleIJNS_4SpanINS_9Iterators16numeric_iteratorIllPlEElEESA_SA_EEENS4_IJEEENS3_9resources2v13HipEJZN8rajaperf9polybench17POLYBENCH_HEAT_3D17runHipVariantImplILm256EEEvNSG_9VariantIDEEUllllE2_EEENS0_24HipStatementListExecutorISM_NS3_4listIJNS_9statement3ForILl0ENS_6policy3hip11hip_indexerINS_17iteration_mapping6DirectELNS_23kernel_sync_requirementE0EJNS_3hip11IndexGlobalILNS_9named_dimE2ELin1ELi0EEEEEEJNSQ_ILl1ENST_ISV_LSW_0EJNSY_ILSZ_1ELi8ELi0EEEEEEJNSQ_ILl2ENST_ISV_LSW_0EJNSY_ILSZ_0ELi32ELi0EEEEEEJNSP_6LambdaILl0EJEEEEEEEEEEEEEEENS0_9LoopTypesINSO_IJvvvEEES1D_EEEEEEvT0_
		.amdhsa_group_segment_fixed_size 0
		.amdhsa_private_segment_fixed_size 0
		.amdhsa_kernarg_size 320
		.amdhsa_user_sgpr_count 6
		.amdhsa_user_sgpr_private_segment_buffer 1
		.amdhsa_user_sgpr_dispatch_ptr 0
		.amdhsa_user_sgpr_queue_ptr 0
		.amdhsa_user_sgpr_kernarg_segment_ptr 1
		.amdhsa_user_sgpr_dispatch_id 0
		.amdhsa_user_sgpr_flat_scratch_init 0
		.amdhsa_user_sgpr_kernarg_preload_length 0
		.amdhsa_user_sgpr_kernarg_preload_offset 0
		.amdhsa_user_sgpr_private_segment_size 0
		.amdhsa_uses_dynamic_stack 0
		.amdhsa_system_sgpr_private_segment_wavefront_offset 0
		.amdhsa_system_sgpr_workgroup_id_x 1
		.amdhsa_system_sgpr_workgroup_id_y 1
		.amdhsa_system_sgpr_workgroup_id_z 1
		.amdhsa_system_sgpr_workgroup_info 0
		.amdhsa_system_vgpr_workitem_id 1
		.amdhsa_next_free_vgpr 26
		.amdhsa_next_free_sgpr 24
		.amdhsa_accum_offset 28
		.amdhsa_reserve_vcc 1
		.amdhsa_reserve_flat_scratch 0
		.amdhsa_float_round_mode_32 0
		.amdhsa_float_round_mode_16_64 0
		.amdhsa_float_denorm_mode_32 3
		.amdhsa_float_denorm_mode_16_64 3
		.amdhsa_dx10_clamp 1
		.amdhsa_ieee_mode 1
		.amdhsa_fp16_overflow 0
		.amdhsa_tg_split 0
		.amdhsa_exception_fp_ieee_invalid_op 0
		.amdhsa_exception_fp_denorm_src 0
		.amdhsa_exception_fp_ieee_div_zero 0
		.amdhsa_exception_fp_ieee_overflow 0
		.amdhsa_exception_fp_ieee_underflow 0
		.amdhsa_exception_fp_ieee_inexact 0
		.amdhsa_exception_int_div_zero 0
	.end_amdhsa_kernel
	.section	.text._ZN4RAJA8internal22HipKernelLauncherFixedILi256ENS0_8LoopDataIN4camp5tupleIJNS_4SpanINS_9Iterators16numeric_iteratorIllPlEElEESA_SA_EEENS4_IJEEENS3_9resources2v13HipEJZN8rajaperf9polybench17POLYBENCH_HEAT_3D17runHipVariantImplILm256EEEvNSG_9VariantIDEEUllllE2_EEENS0_24HipStatementListExecutorISM_NS3_4listIJNS_9statement3ForILl0ENS_6policy3hip11hip_indexerINS_17iteration_mapping6DirectELNS_23kernel_sync_requirementE0EJNS_3hip11IndexGlobalILNS_9named_dimE2ELin1ELi0EEEEEEJNSQ_ILl1ENST_ISV_LSW_0EJNSY_ILSZ_1ELi8ELi0EEEEEEJNSQ_ILl2ENST_ISV_LSW_0EJNSY_ILSZ_0ELi32ELi0EEEEEEJNSP_6LambdaILl0EJEEEEEEEEEEEEEEENS0_9LoopTypesINSO_IJvvvEEES1D_EEEEEEvT0_,"axG",@progbits,_ZN4RAJA8internal22HipKernelLauncherFixedILi256ENS0_8LoopDataIN4camp5tupleIJNS_4SpanINS_9Iterators16numeric_iteratorIllPlEElEESA_SA_EEENS4_IJEEENS3_9resources2v13HipEJZN8rajaperf9polybench17POLYBENCH_HEAT_3D17runHipVariantImplILm256EEEvNSG_9VariantIDEEUllllE2_EEENS0_24HipStatementListExecutorISM_NS3_4listIJNS_9statement3ForILl0ENS_6policy3hip11hip_indexerINS_17iteration_mapping6DirectELNS_23kernel_sync_requirementE0EJNS_3hip11IndexGlobalILNS_9named_dimE2ELin1ELi0EEEEEEJNSQ_ILl1ENST_ISV_LSW_0EJNSY_ILSZ_1ELi8ELi0EEEEEEJNSQ_ILl2ENST_ISV_LSW_0EJNSY_ILSZ_0ELi32ELi0EEEEEEJNSP_6LambdaILl0EJEEEEEEEEEEEEEEENS0_9LoopTypesINSO_IJvvvEEES1D_EEEEEEvT0_,comdat
.Lfunc_end5:
	.size	_ZN4RAJA8internal22HipKernelLauncherFixedILi256ENS0_8LoopDataIN4camp5tupleIJNS_4SpanINS_9Iterators16numeric_iteratorIllPlEElEESA_SA_EEENS4_IJEEENS3_9resources2v13HipEJZN8rajaperf9polybench17POLYBENCH_HEAT_3D17runHipVariantImplILm256EEEvNSG_9VariantIDEEUllllE2_EEENS0_24HipStatementListExecutorISM_NS3_4listIJNS_9statement3ForILl0ENS_6policy3hip11hip_indexerINS_17iteration_mapping6DirectELNS_23kernel_sync_requirementE0EJNS_3hip11IndexGlobalILNS_9named_dimE2ELin1ELi0EEEEEEJNSQ_ILl1ENST_ISV_LSW_0EJNSY_ILSZ_1ELi8ELi0EEEEEEJNSQ_ILl2ENST_ISV_LSW_0EJNSY_ILSZ_0ELi32ELi0EEEEEEJNSP_6LambdaILl0EJEEEEEEEEEEEEEEENS0_9LoopTypesINSO_IJvvvEEES1D_EEEEEEvT0_, .Lfunc_end5-_ZN4RAJA8internal22HipKernelLauncherFixedILi256ENS0_8LoopDataIN4camp5tupleIJNS_4SpanINS_9Iterators16numeric_iteratorIllPlEElEESA_SA_EEENS4_IJEEENS3_9resources2v13HipEJZN8rajaperf9polybench17POLYBENCH_HEAT_3D17runHipVariantImplILm256EEEvNSG_9VariantIDEEUllllE2_EEENS0_24HipStatementListExecutorISM_NS3_4listIJNS_9statement3ForILl0ENS_6policy3hip11hip_indexerINS_17iteration_mapping6DirectELNS_23kernel_sync_requirementE0EJNS_3hip11IndexGlobalILNS_9named_dimE2ELin1ELi0EEEEEEJNSQ_ILl1ENST_ISV_LSW_0EJNSY_ILSZ_1ELi8ELi0EEEEEEJNSQ_ILl2ENST_ISV_LSW_0EJNSY_ILSZ_0ELi32ELi0EEEEEEJNSP_6LambdaILl0EJEEEEEEEEEEEEEEENS0_9LoopTypesINSO_IJvvvEEES1D_EEEEEEvT0_
                                        ; -- End function
	.section	.AMDGPU.csdata,"",@progbits
; Kernel info:
; codeLenInByte = 772
; NumSgprs: 28
; NumVgprs: 26
; NumAgprs: 0
; TotalNumVgprs: 26
; ScratchSize: 0
; MemoryBound: 0
; FloatMode: 240
; IeeeMode: 1
; LDSByteSize: 0 bytes/workgroup (compile time only)
; SGPRBlocks: 3
; VGPRBlocks: 3
; NumSGPRsForWavesPerEU: 28
; NumVGPRsForWavesPerEU: 26
; AccumOffset: 28
; Occupancy: 8
; WaveLimiterHint : 1
; COMPUTE_PGM_RSRC2:SCRATCH_EN: 0
; COMPUTE_PGM_RSRC2:USER_SGPR: 6
; COMPUTE_PGM_RSRC2:TRAP_HANDLER: 0
; COMPUTE_PGM_RSRC2:TGID_X_EN: 1
; COMPUTE_PGM_RSRC2:TGID_Y_EN: 1
; COMPUTE_PGM_RSRC2:TGID_Z_EN: 1
; COMPUTE_PGM_RSRC2:TIDIG_COMP_CNT: 1
; COMPUTE_PGM_RSRC3_GFX90A:ACCUM_OFFSET: 6
; COMPUTE_PGM_RSRC3_GFX90A:TG_SPLIT: 0
	.text
	.p2alignl 6, 3212836864
	.fill 256, 4, 3212836864
	.type	__hip_cuid_afb39b2a81822dae,@object ; @__hip_cuid_afb39b2a81822dae
	.section	.bss,"aw",@nobits
	.globl	__hip_cuid_afb39b2a81822dae
__hip_cuid_afb39b2a81822dae:
	.byte	0                               ; 0x0
	.size	__hip_cuid_afb39b2a81822dae, 1

	.ident	"AMD clang version 19.0.0git (https://github.com/RadeonOpenCompute/llvm-project roc-6.4.0 25133 c7fe45cf4b819c5991fe208aaa96edf142730f1d)"
	.section	".note.GNU-stack","",@progbits
	.addrsig
	.addrsig_sym __hip_cuid_afb39b2a81822dae
	.amdgpu_metadata
---
amdhsa.kernels:
  - .agpr_count:     0
    .args:
      - .address_space:  global
        .offset:         0
        .size:           8
        .value_kind:     global_buffer
      - .address_space:  global
        .offset:         8
        .size:           8
        .value_kind:     global_buffer
      - .offset:         16
        .size:           8
        .value_kind:     by_value
    .group_segment_fixed_size: 0
    .kernarg_segment_align: 8
    .kernarg_segment_size: 24
    .language:       OpenCL C
    .language_version:
      - 2
      - 0
    .max_flat_workgroup_size: 256
    .name:           _ZN8rajaperf9polybench14poly_heat_3D_1ILm32ELm8ELm1EEEvPdS2_l
    .private_segment_fixed_size: 0
    .sgpr_count:     16
    .sgpr_spill_count: 0
    .symbol:         _ZN8rajaperf9polybench14poly_heat_3D_1ILm32ELm8ELm1EEEvPdS2_l.kd
    .uniform_work_group_size: 1
    .uses_dynamic_stack: false
    .vgpr_count:     30
    .vgpr_spill_count: 0
    .wavefront_size: 64
  - .agpr_count:     0
    .args:
      - .address_space:  global
        .offset:         0
        .size:           8
        .value_kind:     global_buffer
      - .address_space:  global
        .offset:         8
        .size:           8
        .value_kind:     global_buffer
      - .offset:         16
        .size:           8
        .value_kind:     by_value
    .group_segment_fixed_size: 0
    .kernarg_segment_align: 8
    .kernarg_segment_size: 24
    .language:       OpenCL C
    .language_version:
      - 2
      - 0
    .max_flat_workgroup_size: 256
    .name:           _ZN8rajaperf9polybench14poly_heat_3D_2ILm32ELm8ELm1EEEvPdS2_l
    .private_segment_fixed_size: 0
    .sgpr_count:     16
    .sgpr_spill_count: 0
    .symbol:         _ZN8rajaperf9polybench14poly_heat_3D_2ILm32ELm8ELm1EEEvPdS2_l.kd
    .uniform_work_group_size: 1
    .uses_dynamic_stack: false
    .vgpr_count:     30
    .vgpr_spill_count: 0
    .wavefront_size: 64
  - .agpr_count:     0
    .args:
      - .offset:         0
        .size:           8
        .value_kind:     by_value
      - .offset:         8
        .size:           24
        .value_kind:     by_value
    .group_segment_fixed_size: 0
    .kernarg_segment_align: 8
    .kernarg_segment_size: 32
    .language:       OpenCL C
    .language_version:
      - 2
      - 0
    .max_flat_workgroup_size: 256
    .name:           _ZN8rajaperf9polybench16poly_heat_3D_lamILm32ELm8ELm1EZNS0_17POLYBENCH_HEAT_3D17runHipVariantImplILm256EEEvNS_9VariantIDEEUllllE_EEvlT2_
    .private_segment_fixed_size: 0
    .sgpr_count:     16
    .sgpr_spill_count: 0
    .symbol:         _ZN8rajaperf9polybench16poly_heat_3D_lamILm32ELm8ELm1EZNS0_17POLYBENCH_HEAT_3D17runHipVariantImplILm256EEEvNS_9VariantIDEEUllllE_EEvlT2_.kd
    .uniform_work_group_size: 1
    .uses_dynamic_stack: false
    .vgpr_count:     27
    .vgpr_spill_count: 0
    .wavefront_size: 64
  - .agpr_count:     0
    .args:
      - .offset:         0
        .size:           8
        .value_kind:     by_value
      - .offset:         8
        .size:           24
        .value_kind:     by_value
    .group_segment_fixed_size: 0
    .kernarg_segment_align: 8
    .kernarg_segment_size: 32
    .language:       OpenCL C
    .language_version:
      - 2
      - 0
    .max_flat_workgroup_size: 256
    .name:           _ZN8rajaperf9polybench16poly_heat_3D_lamILm32ELm8ELm1EZNS0_17POLYBENCH_HEAT_3D17runHipVariantImplILm256EEEvNS_9VariantIDEEUllllE0_EEvlT2_
    .private_segment_fixed_size: 0
    .sgpr_count:     16
    .sgpr_spill_count: 0
    .symbol:         _ZN8rajaperf9polybench16poly_heat_3D_lamILm32ELm8ELm1EZNS0_17POLYBENCH_HEAT_3D17runHipVariantImplILm256EEEvNS_9VariantIDEEUllllE0_EEvlT2_.kd
    .uniform_work_group_size: 1
    .uses_dynamic_stack: false
    .vgpr_count:     27
    .vgpr_spill_count: 0
    .wavefront_size: 64
  - .agpr_count:     0
    .args:
      - .offset:         0
        .size:           320
        .value_kind:     by_value
    .group_segment_fixed_size: 0
    .kernarg_segment_align: 8
    .kernarg_segment_size: 320
    .language:       OpenCL C
    .language_version:
      - 2
      - 0
    .max_flat_workgroup_size: 256
    .name:           _ZN4RAJA8internal22HipKernelLauncherFixedILi256ENS0_8LoopDataIN4camp5tupleIJNS_4SpanINS_9Iterators16numeric_iteratorIllPlEElEESA_SA_EEENS4_IJEEENS3_9resources2v13HipEJZN8rajaperf9polybench17POLYBENCH_HEAT_3D17runHipVariantImplILm256EEEvNSG_9VariantIDEEUllllE1_EEENS0_24HipStatementListExecutorISM_NS3_4listIJNS_9statement3ForILl0ENS_6policy3hip11hip_indexerINS_17iteration_mapping6DirectELNS_23kernel_sync_requirementE0EJNS_3hip11IndexGlobalILNS_9named_dimE2ELin1ELi0EEEEEEJNSQ_ILl1ENST_ISV_LSW_0EJNSY_ILSZ_1ELi8ELi0EEEEEEJNSQ_ILl2ENST_ISV_LSW_0EJNSY_ILSZ_0ELi32ELi0EEEEEEJNSP_6LambdaILl0EJEEEEEEEEEEEEEEENS0_9LoopTypesINSO_IJvvvEEES1D_EEEEEEvT0_
    .private_segment_fixed_size: 0
    .sgpr_count:     28
    .sgpr_spill_count: 0
    .symbol:         _ZN4RAJA8internal22HipKernelLauncherFixedILi256ENS0_8LoopDataIN4camp5tupleIJNS_4SpanINS_9Iterators16numeric_iteratorIllPlEElEESA_SA_EEENS4_IJEEENS3_9resources2v13HipEJZN8rajaperf9polybench17POLYBENCH_HEAT_3D17runHipVariantImplILm256EEEvNSG_9VariantIDEEUllllE1_EEENS0_24HipStatementListExecutorISM_NS3_4listIJNS_9statement3ForILl0ENS_6policy3hip11hip_indexerINS_17iteration_mapping6DirectELNS_23kernel_sync_requirementE0EJNS_3hip11IndexGlobalILNS_9named_dimE2ELin1ELi0EEEEEEJNSQ_ILl1ENST_ISV_LSW_0EJNSY_ILSZ_1ELi8ELi0EEEEEEJNSQ_ILl2ENST_ISV_LSW_0EJNSY_ILSZ_0ELi32ELi0EEEEEEJNSP_6LambdaILl0EJEEEEEEEEEEEEEEENS0_9LoopTypesINSO_IJvvvEEES1D_EEEEEEvT0_.kd
    .uniform_work_group_size: 1
    .uses_dynamic_stack: false
    .vgpr_count:     26
    .vgpr_spill_count: 0
    .wavefront_size: 64
  - .agpr_count:     0
    .args:
      - .offset:         0
        .size:           320
        .value_kind:     by_value
    .group_segment_fixed_size: 0
    .kernarg_segment_align: 8
    .kernarg_segment_size: 320
    .language:       OpenCL C
    .language_version:
      - 2
      - 0
    .max_flat_workgroup_size: 256
    .name:           _ZN4RAJA8internal22HipKernelLauncherFixedILi256ENS0_8LoopDataIN4camp5tupleIJNS_4SpanINS_9Iterators16numeric_iteratorIllPlEElEESA_SA_EEENS4_IJEEENS3_9resources2v13HipEJZN8rajaperf9polybench17POLYBENCH_HEAT_3D17runHipVariantImplILm256EEEvNSG_9VariantIDEEUllllE2_EEENS0_24HipStatementListExecutorISM_NS3_4listIJNS_9statement3ForILl0ENS_6policy3hip11hip_indexerINS_17iteration_mapping6DirectELNS_23kernel_sync_requirementE0EJNS_3hip11IndexGlobalILNS_9named_dimE2ELin1ELi0EEEEEEJNSQ_ILl1ENST_ISV_LSW_0EJNSY_ILSZ_1ELi8ELi0EEEEEEJNSQ_ILl2ENST_ISV_LSW_0EJNSY_ILSZ_0ELi32ELi0EEEEEEJNSP_6LambdaILl0EJEEEEEEEEEEEEEEENS0_9LoopTypesINSO_IJvvvEEES1D_EEEEEEvT0_
    .private_segment_fixed_size: 0
    .sgpr_count:     28
    .sgpr_spill_count: 0
    .symbol:         _ZN4RAJA8internal22HipKernelLauncherFixedILi256ENS0_8LoopDataIN4camp5tupleIJNS_4SpanINS_9Iterators16numeric_iteratorIllPlEElEESA_SA_EEENS4_IJEEENS3_9resources2v13HipEJZN8rajaperf9polybench17POLYBENCH_HEAT_3D17runHipVariantImplILm256EEEvNSG_9VariantIDEEUllllE2_EEENS0_24HipStatementListExecutorISM_NS3_4listIJNS_9statement3ForILl0ENS_6policy3hip11hip_indexerINS_17iteration_mapping6DirectELNS_23kernel_sync_requirementE0EJNS_3hip11IndexGlobalILNS_9named_dimE2ELin1ELi0EEEEEEJNSQ_ILl1ENST_ISV_LSW_0EJNSY_ILSZ_1ELi8ELi0EEEEEEJNSQ_ILl2ENST_ISV_LSW_0EJNSY_ILSZ_0ELi32ELi0EEEEEEJNSP_6LambdaILl0EJEEEEEEEEEEEEEEENS0_9LoopTypesINSO_IJvvvEEES1D_EEEEEEvT0_.kd
    .uniform_work_group_size: 1
    .uses_dynamic_stack: false
    .vgpr_count:     26
    .vgpr_spill_count: 0
    .wavefront_size: 64
amdhsa.target:   amdgcn-amd-amdhsa--gfx90a
amdhsa.version:
  - 1
  - 2
...

	.end_amdgpu_metadata
